;; amdgpu-corpus repo=ROCm/hipBLASLt kind=harvested arch=n/a opt=n/a

/******************************************/
/* Begin Kernel                           */
/******************************************/
.amdgcn_target "amdgcn-amd-amdhsa--gfx942"
.text
.protected Custom_Cijk_Ailk_Bljk_F8NH_HSS_BH_Bias_GG_AS_SAB_SAV_UserArgs_shortname18_gfx942
.globl Custom_Cijk_Ailk_Bljk_F8NH_HSS_BH_Bias_GG_AS_SAB_SAV_UserArgs_shortname18_gfx942
.p2align 8
.type Custom_Cijk_Ailk_Bljk_F8NH_HSS_BH_Bias_GG_AS_SAB_SAV_UserArgs_shortname18_gfx942,@function
.section .rodata,#alloc
.p2align 6
.amdhsa_kernel Custom_Cijk_Ailk_Bljk_F8NH_HSS_BH_Bias_GG_AS_SAB_SAV_UserArgs_shortname18_gfx942
  .amdhsa_user_sgpr_kernarg_segment_ptr 1
  .amdhsa_accum_offset 256 // accvgpr offset
  .amdhsa_next_free_vgpr 512 // vgprs
  .amdhsa_next_free_sgpr 102 // sgprs
  .amdhsa_group_segment_fixed_size 65536 // lds bytes
  .amdhsa_private_segment_fixed_size 0
  .amdhsa_system_sgpr_workgroup_id_x 1
  .amdhsa_system_sgpr_workgroup_id_y 1
  .amdhsa_system_sgpr_workgroup_id_z 1
  .amdhsa_system_vgpr_workitem_id 0
  .amdhsa_float_denorm_mode_32 3
  .amdhsa_float_denorm_mode_16_64 3
  .amdhsa_user_sgpr_count 13
  .amdhsa_user_sgpr_kernarg_preload_length 11
  .amdhsa_user_sgpr_kernarg_preload_offset 0
.end_amdhsa_kernel
.text
/* Num VGPR   =146 */
/* Num AccVGPR=384 */
/* Num SGPR   =78 */

/******************************************/
/* Optimizations and Config:              */
/******************************************/
/* ThreadTile= 32 x 12 */
/* SubGroup= 8 x 32 */
/* VectorWidthA=8 */
/* VectorWidthB=1 */
/* GlobalReadVectorWidthA=8, GlobalReadVectorWidthB=4 */
/* DirectToLdsA=False */
/* DirectToLdsB=False */
/* UseSgprForGRO=1 */
.amdgpu_metadata
---
custom.config:
   ProblemType:
      OperationType: GEMM
      DataTypeA: f8n
      DataTypeB: h
      UseScaleAB: "Scalar"
      DataType: h
      DestDataType: s
      ComputeDataType: s
      HighPrecisionAccumulate: True
      TransposeA: False
      TransposeB: False
      UseBias: 1
      Activation: True
      UseScaleAlphaVec: 1
      UseBeta: True
      Batched: True
      GroupedGemm:   True
      SupportUserArgs: True
   EnableF32XdlMathOp: False
   EnableMatrixInstruction: True
   MFMA_BF16_1K: False
   MIBlock: [16, 16, 16, 1, 1, 1]
   MIInputPerThread: 4
   MIInputPerThreadA: 4
   MIInputPerThreadB: 4
   MIInputPerThreadMetadata: 4
   MIWaveGroup: [2, 2]
   MIWaveTile: [8, 12]
   MatrixInstB: 1
   MatrixInstBM: 1
   MatrixInstBN: 1
   MatrixInstK: 16
   MatrixInstM: 16
   MatrixInstN: 16
   MatrixInstruction: [16, 16, 16, 1]
   Sparse: 0
   ThreadTile: [1, 1]
   WavefrontSize: 64
   WorkGroup: [32, 8, 1]
   1LDSBuffer: 1
   ScheduleIterAlg: 3
   DepthU: 32
   StaggerU: 0
   WorkGroupMapping: 1
   WaveSeparateGlobalReadA: 1
   WaveSeparateGlobalReadB: 1
   GlobalReadVectorWidthA: 8
   GlobalReadVectorWidthB: 4
   AssertFree0ElementMultiple: 8
   AssertSummationElementMultiple: 1
   InternalSupportParams:
      KernArgsVersion: 0
      SupportUserGSU: False
      SupportCustomWGM: False
      SupportCustomStaggerU: False
      UseUniversalArgs: False
amdhsa.version:
  - 1
  - 1
amdhsa.kernels:
  - .name: Custom_Cijk_Ailk_Bljk_F8NH_HSS_BH_Bias_GG_AS_SAB_SAV_UserArgs_shortname18_gfx942
    .symbol: 'Custom_Cijk_Ailk_Bljk_F8NH_HSS_BH_Bias_GG_AS_SAB_SAV_UserArgs_shortname18_gfx942.kd'
    .language:                   OpenCL C
    .language_version:
      - 2
      - 0
    .args:
      - .name:            SizesFree0
        .size:            4
        .offset:          0
        .value_kind:      by_value
        .value_type:      u32
      - .name:            SizesFree1
        .size:            4
        .offset:          4
        .value_kind:      by_value
        .value_type:      u32
      - .name:            SizesFree2
        .size:            4
        .offset:          8
        .value_kind:      by_value
        .value_type:      u32
      - .name:            SizesSum0
        .size:            4
        .offset:          12
        .value_kind:      by_value
        .value_type:      u32
      - .name:            D
        .size:            8
        .offset:          16
        .value_kind:      global_buffer
        .value_type:      f16
        .address_space:   generic
      - .name:            C
        .size:            8
        .offset:          24
        .value_kind:      global_buffer
        .value_type:      f16
        .address_space:   generic
      - .name:            A
        .size:            8
        .offset:          32
        .value_kind:      global_buffer
        .value_type:      f16
        .address_space:   generic
      - .name:            B
        .size:            8
        .offset:          40
        .value_kind:      global_buffer
        .value_type:      f16
        .address_space:   generic
      - .name:            strideD0
        .size:            4
        .offset:          48
        .value_kind:      by_value
        .value_type:      u32
      - .name:            strideD1
        .size:            4
        .offset:          52
        .value_kind:      by_value
        .value_type:      u32
      - .name:            strideC0
        .size:            4
        .offset:          56
        .value_kind:      by_value
        .value_type:      u32
      - .name:            strideC1
        .size:            4
        .offset:          60
        .value_kind:      by_value
        .value_type:      u32
      - .name:            strideA0
        .size:            4
        .offset:          64
        .value_kind:      by_value
        .value_type:      u32
      - .name:            strideA1
        .size:            4
        .offset:          68
        .value_kind:      by_value
        .value_type:      u32
      - .name:            strideB0
        .size:            4
        .offset:          72
        .value_kind:      by_value
        .value_type:      u32
      - .name:            strideB1
        .size:            4
        .offset:          76
        .value_kind:      by_value
        .value_type:      u32
      - .name:            alpha
        .size:            4
        .offset:          80
        .value_kind:      by_value
        .value_type:      f32
      - .name:            beta
        .size:            4
        .offset:          84
        .value_kind:      by_value
        .value_type:      f32
      - .name:            AddressScaleA
        .size:            8
        .offset:          88
        .value_kind:      global_buffer
        .value_type:      f32
        .address_space:   generic
      - .name:            AddressScaleB
        .size:            8
        .offset:          96
        .value_kind:      global_buffer
        .value_type:      f32
        .address_space:   generic
      - .name:            AddressScaleAlphaVec
        .size:            8
        .offset:          104
        .value_kind:      global_buffer
        .value_type:      f32
        .address_space:   generic
      - .name:            bias
        .size:            8
        .offset:          112
        .value_kind:      global_buffer
        .value_type:      void
        .address_space:   generic
      - .name:            biasType
        .size:            4
        .offset:          120
        .value_kind:      by_value
        .value_type:      u32
      - .name:            StrideBias
        .size:            4
        .offset:          124
        .value_kind:      by_value
        .value_type:      u32
      - .name:            activationAlpha
        .size:            4
        .offset:          128
        .value_kind:      by_value
        .value_type:      f32
      - .name:            activationBeta
        .size:            4
        .offset:          132
        .value_kind:      by_value
        .value_type:      f32
      - .name:            activationType
        .size:            4
        .offset:          136
        .value_kind:      by_value
        .value_type:      u32
    .group_segment_fixed_size:   42496
    .kernarg_segment_align:      8
    .kernarg_segment_size:       144
    .max_flat_workgroup_size:    256
    .private_segment_fixed_size: 0
    .sgpr_count:                 78
    .sgpr_spill_count:           0
    .vgpr_count:                 146
    .vgpr_spill_count:           0
    .wavefront_size:             64
...
.end_amdgpu_metadata
Custom_Cijk_Ailk_Bljk_F8NH_HSS_BH_Bias_GG_AS_SAB_SAV_UserArgs_shortname18_gfx942:
.long 0xC00206C0, 0x00000000
.long 0xC0020A80, 0x00000018
	;; [unrolled: 1-line block ×4, first 2 shown]
.long 0xBF8CC07F
.long 0xBF82003D
	;; [unrolled: 1-line block ×63, first 2 shown]
.long 0xBEB800FF, 0x05040100
.long 0xBEB900FF, 0x07060302
	;; [unrolled: 1-line block ×3, first 2 shown]
.long 0x7EFE0300
.long 0xBE82000D
	;; [unrolled: 1-line block ×6, first 2 shown]
.long 0xBE9A00FF, 0x0000008C
.long 0x9216841B
.long 0xBE900100
.long 0xBF820004
.long 0xBE9A00FF, 0x000000C4
.long 0xBE960080
.long 0xBE900106
.long 0xBE980081
.long 0xBE970080
.long 0xC0080308, 0x00000016
.long 0xB41B0001
	;; [unrolled: 5-line block ×3, first 2 shown]
.long 0xBE930080
.long 0x92120DFF, 0x00000155
.long 0x8E929012
.long 0x9215FF0D, 0x00005556
.long 0x80121215
.long 0x82138013
	;; [unrolled: 1-line block ×3, first 2 shown]
.long 0x9213FF12, 0x00000180
.long 0xBF070D13
.long 0x82158012
	;; [unrolled: 1-line block ×9, first 2 shown]
.long 0xC0080308, 0x00000016
.long 0x80188118
.long 0xBF0A1B18
	;; [unrolled: 1-line block ×5, first 2 shown]
.long 0x86120CFF, 0x000000FF
.long 0x82148014
.long 0xBE930080
.long 0x92120DFF, 0x00000155
.long 0x8E929012
.long 0x9215FF0D, 0x00005556
.long 0x80121215
.long 0x82138013
	;; [unrolled: 1-line block ×3, first 2 shown]
.long 0x9213FF12, 0x00000180
.long 0xBF070D13
.long 0x82158012
	;; [unrolled: 1-line block ×13, first 2 shown]
.long 0x920BFF0B, 0x0000008C
.long 0x80000B00
.long 0x82018001
.long 0xC0120500, 0x00000000
.long 0xC00A0900, 0x00000040
	;; [unrolled: 1-line block ×3, first 2 shown]
.long 0xBF82000C
.long 0x920BFF0B, 0x000000C4
.long 0x80060B06
.long 0x82078007
.long 0xC0120503, 0x00000000
.long 0xC00A0903, 0x00000040
	;; [unrolled: 1-line block ×4, first 2 shown]
.long 0x2602FEBF
.long 0x2600028F
	;; [unrolled: 1-line block ×31, first 2 shown]
.long 0xBE8B00FF, 0x00000100
.long 0xD2850002, 0x0002040B
	;; [unrolled: 1-line block ×3, first 2 shown]
.long 0x2000FE88
.long 0xBE8B00FF, 0x00000180
.long 0xD2850000, 0x0002000B
	;; [unrolled: 1-line block ×3, first 2 shown]
.long 0x2004EA87
.long 0x24040483
.long 0x68EAEB02
.long 0x32EAEAFF, 0x00004000
.long 0x2608FEBF
.long 0x20020885
	;; [unrolled: 1-line block ×13, first 2 shown]
.long 0x920BFF0B, 0x00000060
.long 0x6804040B
.long 0x24060682
.long 0x10A002FF, 0x00000100
.long 0xD1FE0050, 0x0206A100
.long 0x10A204A0
.long 0xD1FE0051, 0x0206A303
.long 0x2008A287
.long 0x24080883
	;; [unrolled: 1-line block ×3, first 2 shown]
.long 0x32A2A2FF, 0x00004000
.long 0xBF8CC07F
.long 0x7E0C02FF, 0x00000100
.long 0x7E0A0214
.long 0x7E080D06
	;; [unrolled: 1-line block ×8, first 2 shown]
.long 0xD0CD006A, 0x00010107
.long 0xD11C6A04, 0x01A90104
	;; [unrolled: 1-line block ×3, first 2 shown]
.long 0x7E0A0215
.long 0x7E120504
	;; [unrolled: 1-line block ×9, first 2 shown]
.long 0xD0CD006A, 0x00010107
.long 0xD11C6A04, 0x01A90104
.long 0xBF800000
.long 0x7E140504
	;; [unrolled: 1-line block ×12, first 2 shown]
.long 0xD1080005, 0x00009104
.long 0x6A0A0A02
.long 0xD0DA007E, 0x00009105
.long 0x68080881
.long 0xBEFE01C1
.long 0x7E900504
.long 0xBE840048
.long 0x9248090A
.long 0x92480448
.long 0x92482A48
.long 0x80824802
.long 0x7E080C09
.long 0x7E084704
.long 0x7E0A0C02
.long 0x0A080B04
.long 0x7E080F04
.long 0xD1080005, 0x00001304
.long 0x6A0A0A02
.long 0xD0DA007E, 0x00001305
.long 0x68080881
.long 0xBEFE01C1
	;; [unrolled: 1-line block ×13, first 2 shown]
.long 0xD042006A, 0x00010028
.long 0xBF860001
.long 0xBE970080
.long 0xD2850004, 0x00020224
.long 0x32A40900
.long 0x68A4A488
	;; [unrolled: 1-line block ×5, first 2 shown]
.long 0xD2850004, 0x00020426
.long 0x32A60903
.long 0x68A6A684
	;; [unrolled: 1-line block ×19, first 2 shown]
.long 0x9245FF26, 0x00000048
.long 0x8E458145
.long 0x9246FF26, 0x00000050
.long 0x8E468146
	;; [unrolled: 2-line block ×3, first 2 shown]
.long 0x964BFF02, 0x00000100
.long 0x924AFF02, 0x00000100
.long 0xBECC0081
.long 0xBECD0080
	;; [unrolled: 1-line block ×24, first 2 shown]
.long 0xBEAF00FF, 0x00020000
.long 0x964BFF03, 0x00000180
	;; [unrolled: 1-line block ×3, first 2 shown]
.long 0x964B264A
.long 0x924A264A
	;; [unrolled: 1-line block ×28, first 2 shown]
.long 0xBEB300FF, 0x00020000
.long 0x9248A02A
.long 0x920B2448
	;; [unrolled: 1-line block ×8, first 2 shown]
.long 0xE0541000, 0x800B5452
.long 0xE0541000, 0x3A0B5652
.long 0xE0541000, 0x3B0B5852
.long 0xE0541000, 0x3C0B5A52
.long 0xE0541000, 0x800C5C53
.long 0xE0541000, 0x3D0C5E53
.long 0xE0541000, 0x3E0C6053
.long 0xE0541000, 0x3F0C6253
.long 0xE0541000, 0x400C6453
.long 0xE0541000, 0x410C6653
.long 0xE0541000, 0x420C6853
.long 0xE0541000, 0x430C6A53
.long 0xE0541000, 0x440C6C53
.long 0xE0541000, 0x450C6E53
.long 0xE0541000, 0x460C7053
.long 0xE0541000, 0x470C7253
.long 0x802C0B2C
.long 0x822D802D
	;; [unrolled: 1-line block ×14, first 2 shown]
.long 0xBE8E00FF, 0x80000000
.long 0xBE8F00FF, 0x00020000
.long 0xBE90001A
.long 0xBE91001B
.long 0xBE9200FF, 0x80000000
.long 0xBE9300FF, 0x00020000
.long 0x924A03FF, 0x00000180
.long 0x9649224A
.long 0x9248224A
	;; [unrolled: 1-line block ×20, first 2 shown]
.long 0xD3D94000, 0x18000080
.long 0xD3D94001, 0x18000080
	;; [unrolled: 1-line block ×256, first 2 shown]
.long 0x7F000280
.long 0x7F020280
	;; [unrolled: 1-line block ×131, first 2 shown]
.long 0x814A84FF, 0x00002124
.long 0x80484A48
.long 0x82498049
	;; [unrolled: 1-line block ×5, first 2 shown]
.long 0x7EF4ACF9, 0x0004067C
.long 0x7EEC14F9, 0x0006147A
.long 0x7EEC14F9, 0x0006157B
.long 0x7EF4ACF9, 0x0005067C
.long 0x7EEE14F9, 0x0006147A
.long 0x7EEE14F9, 0x0006157B
.long 0x7EF4ACF9, 0x0004067D
.long 0x7EF014F9, 0x0006147A
.long 0x7EF014F9, 0x0006157B
.long 0x7EF4ACF9, 0x0005067D
.long 0x7EF214F9, 0x0006147A
.long 0x7EF214F9, 0x0006157B
.long 0xD9BE0000, 0x00007650
.long 0x7EF87156
.long 0x7EF4ACF9, 0x0004067C
.long 0x7EEC14F9, 0x0006147A
.long 0x7EEC14F9, 0x0006157B
.long 0x7EF4ACF9, 0x0005067C
.long 0x7EEE14F9, 0x0006147A
.long 0x7EEE14F9, 0x0006157B
.long 0x7EF4ACF9, 0x0004067D
.long 0x7EF014F9, 0x0006147A
.long 0x7EF014F9, 0x0006157B
.long 0x7EF4ACF9, 0x0005067D
.long 0x7EF214F9, 0x0006147A
.long 0x7EF214F9, 0x0006157B
.long 0xD9BE0400, 0x00007650
.long 0x7EF87158
	;; [unrolled: 14-line block ×3, first 2 shown]
.long 0x7EF4ACF9, 0x0004067C
.long 0x7EEC14F9, 0x0006147A
	;; [unrolled: 1-line block ×25, first 2 shown]
.long 0xBF068105
.long 0xBF850020
.long 0xE0541000, 0x800B5452
.long 0xE0541000, 0x3A0B5652
	;; [unrolled: 1-line block ×16, first 2 shown]
.long 0xBF8CC07F
.long 0xBF8A0000
.long 0xD9FE0000, 0x00000074
.long 0xD9FE0200, 0x04000074
	;; [unrolled: 1-line block ×16, first 2 shown]
.long 0xBF8CCC7F
.long 0xD1ED0076, 0x00E60104
.long 0xD1ED0000, 0x00E20104
	;; [unrolled: 1-line block ×6, first 2 shown]
.long 0x7E020377
.long 0xD1ED0005, 0x00E2130D
.long 0xD1ED0077, 0x00E6130D
	;; [unrolled: 1-line block ×6, first 2 shown]
.long 0x7E040376
.long 0x7E0C0379
.long 0xD1ED000C, 0x00E20707
.long 0xD1ED000D, 0x00E2170F
	;; [unrolled: 1-line block ×3, first 2 shown]
.long 0x7E060378
.long 0x7E0E0377
.long 0xD1ED000F, 0x00E6170F
.long 0x7E16037A
.long 0xBF068105
.long 0xBF85058A
.long 0xBF0B8205
.long 0xBF8502D6
.long 0xBF8CC07F
.long 0xD3CD8000, 0x04020120
.long 0xD9FE2000, 0x10000074
.long 0x802C0B2C
.long 0xD3CD8004, 0x04120520
.long 0xD9FE2200, 0x14000074
.long 0x822D802D
	;; [unrolled: 3-line block ×12, first 2 shown]
.long 0xD3CD8030, 0x04C21122
.long 0xD8EC4420, 0x48000075
	;; [unrolled: 1-line block ×22, first 2 shown]
.long 0xBF8CC07F
.long 0xBF8A0000
.long 0xD3CD8078, 0x05E21926
.long 0xBF8C0F7F
.long 0x7EF87154
.long 0xE0541000, 0x800B5452
.long 0xD3CD807C, 0x05F21D26
.long 0x7EF4ACF9, 0x0004067C
.long 0x7EEC14F9, 0x0006147A
.long 0x7EEC14F9, 0x0006157B
.long 0xD3CD8080, 0x06020128
.long 0x7EF4ACF9, 0x0005067C
.long 0x7EEE14F9, 0x0006147A
.long 0x7EEE14F9, 0x0006157B
.long 0xD3CD8084, 0x06120528
.long 0x7EF4ACF9, 0x0004067D
.long 0x7EF014F9, 0x0006147A
.long 0x7EF014F9, 0x0006157B
.long 0xD3CD8088, 0x06220928
.long 0x7EF4ACF9, 0x0005067D
.long 0x7EF214F9, 0x0006147A
.long 0x7EF214F9, 0x0006157B
.long 0xD3CD808C, 0x06320D28
.long 0xD9BE0000, 0x00007650
.long 0xD3CD8090, 0x06421128
.long 0xD3CD8094, 0x06521528
.long 0xD3CD8098, 0x06621928
.long 0xD3CD809C, 0x06721D28
.long 0xBF8C0F7F
.long 0x7EF87156
.long 0xE0541000, 0x3A0B5652
.long 0xD3CD80A0, 0x0682012A
.long 0x7EF4ACF9, 0x0004067C
.long 0x7EEC14F9, 0x0006147A
.long 0x7EEC14F9, 0x0006157B
.long 0xD3CD80A4, 0x0692052A
.long 0x7EF4ACF9, 0x0005067C
.long 0x7EEE14F9, 0x0006147A
.long 0x7EEE14F9, 0x0006157B
.long 0xD3CD80A8, 0x06A2092A
.long 0x7EF4ACF9, 0x0004067D
.long 0x7EF014F9, 0x0006147A
.long 0x7EF014F9, 0x0006157B
.long 0xD3CD80AC, 0x06B20D2A
.long 0x7EF4ACF9, 0x0005067D
.long 0x7EF214F9, 0x0006147A
.long 0x7EF214F9, 0x0006157B
.long 0xD3CD80B0, 0x06C2112A
.long 0xD9BE0400, 0x00007650
.long 0xD3CD80B4, 0x06D2152A
.long 0xD3CD80B8, 0x06E2192A
.long 0xD3CD80BC, 0x06F21D2A
	;; [unrolled: 25-line block ×4, first 2 shown]
.long 0xD3CD0088, 0x06220930
.long 0xBF8C0F7F
.long 0xD89A0000, 0x00005C51
.long 0xD3CD008C, 0x06320D30
.long 0xE0541000, 0x800C5C53
.long 0xD3CD0090, 0x06421130
.long 0xD3CD0094, 0x06521530
.long 0xD3CD0098, 0x06621930
.long 0xD3CD009C, 0x06721D30
.long 0xD3CD00A0, 0x06820132
.long 0xD3CD00A4, 0x06920532
.long 0xD3CD00A8, 0x06A20932
.long 0xD3CD00AC, 0x06B20D32
.long 0xBF8C0F7F
.long 0xD89A0220, 0x00005E51
.long 0xD3CD00B0, 0x06C21132
.long 0xE0541000, 0x3D0C5E53
.long 0xD3CD00B4, 0x06D21532
.long 0xD3CD00B8, 0x06E21932
.long 0xD3CD00BC, 0x06F21D32
.long 0xD3CD00C0, 0x07020134
.long 0xD3CD00C4, 0x07120534
.long 0xD3CD00C8, 0x07220934
.long 0xD3CD00CC, 0x07320D34
	;; [unrolled: 12-line block ×3, first 2 shown]
.long 0xD1ED0014, 0x00E22315
.long 0xD1ED0079, 0x00E62315
.long 0x7E220377
.long 0xD3CD00E4, 0x07920536
.long 0xD1ED0015, 0x00E2331D
	;; [unrolled: 1-line block ×9, first 2 shown]
.long 0x7E240376
.long 0x7E2C0379
.long 0xD1ED001C, 0x00E22717
.long 0xD3CD00F0, 0x07C21136
	;; [unrolled: 1-line block ×4, first 2 shown]
.long 0x7E260378
.long 0xD3CD00F4, 0x07D21536
.long 0xBF8C0F7F
.long 0xD89A0660, 0x00006251
.long 0xD3CD00F8, 0x07E21936
	;; [unrolled: 1-line block ×4, first 2 shown]
.long 0x7E2E0377
.long 0xD1ED001F, 0x00E6371F
.long 0x7E36037A
.long 0xBF8CC87F
.long 0xD3CD8000, 0x04022138
.long 0xD3CD8004, 0x04122538
.long 0xD3CD8008, 0x04222938
.long 0xD3CD800C, 0x04322D38
.long 0xD3CD8010, 0x04423138
.long 0xD3CD8014, 0x04523538
.long 0xD3CD8018, 0x04623938
.long 0xBF8C0F7F
.long 0xD89A0880, 0x00006451
.long 0xD3CD801C, 0x04723D38
.long 0xE0541000, 0x400C6453
.long 0xD3CD8020, 0x0482213A
.long 0xD3CD8024, 0x0492253A
.long 0xD3CD8028, 0x04A2293A
.long 0xD3CD802C, 0x04B22D3A
.long 0xD3CD8030, 0x04C2313A
.long 0xD3CD8034, 0x04D2353A
.long 0xD3CD8038, 0x04E2393A
.long 0xD3CD803C, 0x04F23D3A
.long 0xBF8C0F7F
.long 0xD89A0AA0, 0x00006651
.long 0xD3CD8040, 0x0502213C
.long 0xE0541000, 0x410C6653
.long 0xD3CD8044, 0x0512253C
	;; [unrolled: 12-line block ×3, first 2 shown]
.long 0xD3CD806C, 0x05B22D3E
.long 0xD3CD8070, 0x05C2313E
.long 0xD3CD8074, 0x05D2353E
.long 0xD3CD8078, 0x05E2393E
.long 0xD3CD807C, 0x05F23D3E
.long 0xD3CD8080, 0x06022140
.long 0xD3CD8084, 0x06122540
.long 0xD3CD8088, 0x06222940
.long 0xBF8C0F7F
.long 0xD89A0EE0, 0x00006A51
.long 0xD3CD808C, 0x06322D40
.long 0xE0541000, 0x430C6A53
.long 0xD3CD8090, 0x06423140
.long 0xD3CD8094, 0x06523540
.long 0xD3CD8098, 0x06623940
.long 0xD3CD809C, 0x06723D40
.long 0xD3CD80A0, 0x06822142
.long 0xD3CD80A4, 0x06922542
.long 0xD3CD80A8, 0x06A22942
.long 0xD3CD80AC, 0x06B22D42
.long 0xBF8C0F7F
.long 0xD89A1100, 0x00006C51
.long 0xD3CD80B0, 0x06C23142
.long 0xE0541000, 0x440C6C53
	;; [unrolled: 12-line block ×5, first 2 shown]
.long 0xD3CD00A0, 0x0682214A
.long 0xD3CD00A4, 0x0692254A
.long 0xBF8CC07F
.long 0xBF8A0000
.long 0xD3CD00A8, 0x06A2294A
.long 0xD9FE0000, 0x00000074
	;; [unrolled: 1-line block ×30, first 2 shown]
.long 0xBF8CCC7F
.long 0xD1ED0076, 0x00E60104
.long 0xD3CD00E0, 0x0782214E
	;; [unrolled: 1-line block ×8, first 2 shown]
.long 0x7E020377
.long 0xD3CD00E8, 0x07A2294E
.long 0xD1ED0005, 0x00E2130D
	;; [unrolled: 1-line block ×9, first 2 shown]
.long 0x7E040376
.long 0x7E0C0379
.long 0xD1ED000C, 0x00E20707
.long 0xD3CD00F4, 0x07D2354E
.long 0xD1ED000D, 0x00E2170F
.long 0xD1ED000E, 0x00E60707
.long 0x7E060378
.long 0xD3CD00F8, 0x07E2394E
.long 0x7E0E0377
.long 0xD1ED000F, 0x00E6170F
	;; [unrolled: 2-line block ×3, first 2 shown]
.long 0x80858105
.long 0xBF008205
	;; [unrolled: 1-line block ×4, first 2 shown]
.long 0xD3CD8000, 0x04020120
.long 0xD9FE2000, 0x10000074
.long 0x802C0B2C
.long 0xD3CD8004, 0x04120520
.long 0xD9FE2200, 0x14000074
.long 0x822D802D
	;; [unrolled: 3-line block ×12, first 2 shown]
.long 0xD3CD8030, 0x04C21122
.long 0xD8EC4420, 0x48000075
	;; [unrolled: 1-line block ×22, first 2 shown]
.long 0xBF8CC07F
.long 0xBF8A0000
.long 0xD3CD8078, 0x05E21926
.long 0xBF8C0F7F
.long 0x7EF87154
.long 0x7EF4ACF9, 0x0004067C
.long 0xD3CD807C, 0x05F21D26
.long 0x7EEC14F9, 0x0006147A
.long 0x7EEC14F9, 0x0006157B
.long 0x7EF4ACF9, 0x0005067C
.long 0xD3CD8080, 0x06020128
.long 0x7EEE14F9, 0x0006147A
.long 0x7EEE14F9, 0x0006157B
.long 0x7EF4ACF9, 0x0004067D
.long 0xD3CD8084, 0x06120528
.long 0x7EF014F9, 0x0006147A
.long 0x7EF014F9, 0x0006157B
.long 0x7EF4ACF9, 0x0005067D
.long 0xD3CD8088, 0x06220928
.long 0x7EF214F9, 0x0006147A
.long 0x7EF214F9, 0x0006157B
.long 0xD3CD808C, 0x06320D28
.long 0xD9BE0000, 0x00007650
.long 0xD3CD8090, 0x06421128
.long 0xD3CD8094, 0x06521528
.long 0xD3CD8098, 0x06621928
.long 0xD3CD809C, 0x06721D28
.long 0xBF8C0F7E
.long 0x7EF87156
.long 0x7EF4ACF9, 0x0004067C
.long 0xD3CD80A0, 0x0682012A
.long 0x7EEC14F9, 0x0006147A
.long 0x7EEC14F9, 0x0006157B
.long 0x7EF4ACF9, 0x0005067C
.long 0xD3CD80A4, 0x0692052A
.long 0x7EEE14F9, 0x0006147A
.long 0x7EEE14F9, 0x0006157B
.long 0x7EF4ACF9, 0x0004067D
.long 0xD3CD80A8, 0x06A2092A
.long 0x7EF014F9, 0x0006147A
.long 0x7EF014F9, 0x0006157B
.long 0x7EF4ACF9, 0x0005067D
.long 0xD3CD80AC, 0x06B20D2A
.long 0x7EF214F9, 0x0006147A
.long 0x7EF214F9, 0x0006157B
.long 0xD3CD80B0, 0x06C2112A
.long 0xD9BE0400, 0x00007650
.long 0xD3CD80B4, 0x06D2152A
.long 0xD3CD80B8, 0x06E2192A
.long 0xD3CD80BC, 0x06F21D2A
	;; [unrolled: 24-line block ×4, first 2 shown]
.long 0xD3CD0088, 0x06220930
.long 0xBF8C0F7B
.long 0xD89A0000, 0x00005C51
.long 0xD3CD008C, 0x06320D30
.long 0xD3CD0090, 0x06421130
.long 0xD3CD0094, 0x06521530
.long 0xD3CD0098, 0x06621930
.long 0xD3CD009C, 0x06721D30
.long 0xD3CD00A0, 0x06820132
.long 0xD3CD00A4, 0x06920532
.long 0xD3CD00A8, 0x06A20932
.long 0xD3CD00AC, 0x06B20D32
.long 0xBF8C0F7A
.long 0xD89A0220, 0x00005E51
.long 0xD3CD00B0, 0x06C21132
.long 0xD3CD00B4, 0x06D21532
.long 0xD3CD00B8, 0x06E21932
.long 0xD3CD00BC, 0x06F21D32
.long 0xD3CD00C0, 0x07020134
.long 0xD3CD00C4, 0x07120534
.long 0xD3CD00C8, 0x07220934
.long 0xD3CD00CC, 0x07320D34
.long 0xD3CD00D0, 0x07421134
.long 0xBF8C0F79
.long 0xD89A0440, 0x00006051
.long 0xD3CD00D4, 0x07521534
.long 0xD3CD00D8, 0x07621934
.long 0xD3CD00DC, 0x07721D34
.long 0xD1ED0076, 0x00E62114
.long 0xD3CD00E0, 0x07820136
.long 0xD1ED0010, 0x00E22114
.long 0xD1ED0077, 0x00E2311C
.long 0xD1ED0078, 0x00E6311C
.long 0xD3CD00E4, 0x07920536
.long 0xD1ED0014, 0x00E22315
	;; [unrolled: 1-line block ×3, first 2 shown]
.long 0x7E220377
.long 0xD3CD00E8, 0x07A20936
.long 0xD1ED0015, 0x00E2331D
	;; [unrolled: 1-line block ×9, first 2 shown]
.long 0x7E240376
.long 0x7E2C0379
.long 0xD1ED001C, 0x00E22717
.long 0xD3CD00F4, 0x07D21536
.long 0xBF8C0F78
.long 0xD89A0660, 0x00006251
.long 0xD3CD00F8, 0x07E21936
.long 0xD1ED001D, 0x00E2371F
.long 0xD1ED001E, 0x00E62717
.long 0x7E260378
.long 0xD3CD00FC, 0x07F21D36
.long 0x7E2E0377
.long 0xD1ED001F, 0x00E6371F
	;; [unrolled: 2-line block ×3, first 2 shown]
.long 0xD3CD8004, 0x04122538
.long 0xD3CD8008, 0x04222938
.long 0xD3CD800C, 0x04322D38
.long 0xD3CD8010, 0x04423138
.long 0xD3CD8014, 0x04523538
.long 0xD3CD8018, 0x04623938
.long 0xBF8C0F77
.long 0xD89A0880, 0x00006451
.long 0xD3CD801C, 0x04723D38
.long 0xD3CD8020, 0x0482213A
.long 0xD3CD8024, 0x0492253A
.long 0xD3CD8028, 0x04A2293A
.long 0xD3CD802C, 0x04B22D3A
.long 0xD3CD8030, 0x04C2313A
.long 0xD3CD8034, 0x04D2353A
.long 0xD3CD8038, 0x04E2393A
.long 0xD3CD803C, 0x04F23D3A
.long 0xBF8C0F76
.long 0xD89A0AA0, 0x00006651
.long 0xD3CD8040, 0x0502213C
.long 0xD3CD8044, 0x0512253C
.long 0xD3CD8048, 0x0522293C
	;; [unrolled: 11-line block ×3, first 2 shown]
.long 0xD3CD8070, 0x05C2313E
.long 0xD3CD8074, 0x05D2353E
.long 0xD3CD8078, 0x05E2393E
.long 0xD3CD807C, 0x05F23D3E
.long 0xD3CD8080, 0x06022140
.long 0xD3CD8084, 0x06122540
.long 0xD3CD8088, 0x06222940
.long 0xBF8C0F74
.long 0xD89A0EE0, 0x00006A51
.long 0xD3CD808C, 0x06322D40
.long 0xD3CD8090, 0x06423140
.long 0xD3CD8094, 0x06523540
.long 0xD3CD8098, 0x06623940
.long 0xD3CD809C, 0x06723D40
.long 0xD3CD80A0, 0x06822142
.long 0xD3CD80A4, 0x06922542
.long 0xD3CD80A8, 0x06A22942
.long 0xD3CD80AC, 0x06B22D42
.long 0xBF8C0F73
.long 0xD89A1100, 0x00006C51
.long 0xD3CD80B0, 0x06C23142
.long 0xD3CD80B4, 0x06D23542
	;; [unrolled: 11-line block ×5, first 2 shown]
.long 0xD3CD00A4, 0x0692254A
.long 0xBF8CC07F
.long 0xBF8A0000
.long 0xD3CD00A8, 0x06A2294A
.long 0xD9FE0000, 0x00000074
	;; [unrolled: 1-line block ×30, first 2 shown]
.long 0xBF8CCC7F
.long 0xD1ED0076, 0x00E60104
.long 0xD3CD00E0, 0x0782214E
	;; [unrolled: 1-line block ×8, first 2 shown]
.long 0x7E020377
.long 0xD3CD00E8, 0x07A2294E
.long 0xD1ED0005, 0x00E2130D
	;; [unrolled: 1-line block ×9, first 2 shown]
.long 0x7E040376
.long 0x7E0C0379
.long 0xD1ED000C, 0x00E20707
.long 0xD3CD00F4, 0x07D2354E
	;; [unrolled: 1-line block ×4, first 2 shown]
.long 0x7E060378
.long 0xD3CD00F8, 0x07E2394E
.long 0x7E0E0377
.long 0xD1ED000F, 0x00E6170F
	;; [unrolled: 2-line block ×4, first 2 shown]
.long 0xD9FE2000, 0x10000074
.long 0xD3CD8004, 0x04120520
	;; [unrolled: 1-line block ×104, first 2 shown]
.long 0xBF8CCC7F
.long 0xD1ED0076, 0x00E62114
.long 0xD1ED0010, 0x00E22114
	;; [unrolled: 1-line block ×8, first 2 shown]
.long 0x7E220377
.long 0xD1ED0015, 0x00E2331D
.long 0xD3CD00EC, 0x07B20D36
	;; [unrolled: 1-line block ×8, first 2 shown]
.long 0x7E240376
.long 0xD3CD00F4, 0x07D21536
.long 0x7E2C0379
.long 0xD1ED001C, 0x00E22717
.long 0xD1ED001D, 0x00E2371F
	;; [unrolled: 1-line block ×4, first 2 shown]
.long 0x7E260378
.long 0x7E2E0377
.long 0xD3CD00FC, 0x07F21D36
.long 0xD1ED001F, 0x00E6371F
.long 0x7E36037A
.long 0xBF8CC07F
.long 0xD3CD8000, 0x04022138
.long 0xD3CD8004, 0x04122538
	;; [unrolled: 1-line block ×96, first 2 shown]
.long 0x8605179F
.long 0xBF068005
.long 0xBE880080
.long 0xBF85037C
.long 0xE0801000, 0x800B5452
.long 0xE0801001, 0x800B0052
.long 0xE0841002, 0x800B0152
.long 0xE0841003, 0x800B0252
.long 0xE0801004, 0x800B5552
.long 0xE0801005, 0x800B0452
.long 0xE0841006, 0x800B0552
.long 0xE0841007, 0x800B0652
.long 0xBF8C0F76
.long 0x24000088
.long 0x28A80154
.long 0xBF8C0F75
.long 0x28A80354
.long 0xBF8C0F74
.long 0x24040488
.long 0x28A80554
.long 0xBF8C0F72
.long 0x24080888
.long 0x28AA0955
.long 0xBF8C0F71
.long 0x28AA0B55
.long 0xBF8C0F70
.long 0x240C0C88
.long 0x28AA0D55
.long 0xE0801000, 0x3A0B5652
.long 0xE0801001, 0x3A0B0052
.long 0xE0841002, 0x3A0B0152
.long 0xE0841003, 0x3A0B0252
.long 0xE0801004, 0x3A0B5752
.long 0xE0801005, 0x3A0B0452
.long 0xE0841006, 0x3A0B0552
.long 0xE0841007, 0x3A0B0652
.long 0xBF8C0F76
.long 0x24000088
.long 0x28AC0156
.long 0xBF8C0F75
.long 0x28AC0356
.long 0xBF8C0F74
.long 0x24040488
.long 0x28AC0556
.long 0xBF8C0F72
.long 0x24080888
.long 0x28AE0957
.long 0xBF8C0F71
	;; [unrolled: 24-line block ×4, first 2 shown]
.long 0x28B60B5B
.long 0xBF8C0F70
	;; [unrolled: 1-line block ×4, first 2 shown]
.long 0xE0901000, 0x800C5C53
.long 0xE0941002, 0x800C0053
.long 0xBF8C0F70
.long 0x28B8015C
.long 0xE0901004, 0x800C5D53
.long 0xE0941006, 0x800C0053
.long 0xBF8C0F70
.long 0x28BA015D
	;; [unrolled: 4-line block ×24, first 2 shown]
.long 0xBF8C0F70
.long 0xBF8A0000
	;; [unrolled: 1-line block ×3, first 2 shown]
.long 0x7EF4ACF9, 0x0004067C
.long 0x7EEC14F9, 0x0006147A
.long 0x7EEC14F9, 0x0006157B
.long 0x7EF4ACF9, 0x0005067C
.long 0x7EEE14F9, 0x0006147A
.long 0x7EEE14F9, 0x0006157B
.long 0x7EF4ACF9, 0x0004067D
.long 0x7EF014F9, 0x0006147A
.long 0x7EF014F9, 0x0006157B
.long 0x7EF4ACF9, 0x0005067D
.long 0x7EF214F9, 0x0006147A
.long 0x7EF214F9, 0x0006157B
.long 0xD9BE0000, 0x00007650
.long 0x7EF87156
.long 0x7EF4ACF9, 0x0004067C
.long 0x7EEC14F9, 0x0006147A
.long 0x7EEC14F9, 0x0006157B
.long 0x7EF4ACF9, 0x0005067C
.long 0x7EEE14F9, 0x0006147A
.long 0x7EEE14F9, 0x0006157B
.long 0x7EF4ACF9, 0x0004067D
.long 0x7EF014F9, 0x0006147A
.long 0x7EF014F9, 0x0006157B
.long 0x7EF4ACF9, 0x0005067D
.long 0x7EF214F9, 0x0006147A
.long 0x7EF214F9, 0x0006157B
.long 0xD9BE0400, 0x00007650
.long 0x7EF87158
	;; [unrolled: 14-line block ×3, first 2 shown]
.long 0x7EF4ACF9, 0x0004067C
.long 0x7EEC14F9, 0x0006147A
.long 0x7EEC14F9, 0x0006157B
.long 0x7EF4ACF9, 0x0005067C
.long 0x7EEE14F9, 0x0006147A
.long 0x7EEE14F9, 0x0006157B
.long 0x7EF4ACF9, 0x0004067D
.long 0x7EF014F9, 0x0006147A
.long 0x7EF014F9, 0x0006157B
.long 0x7EF4ACF9, 0x0005067D
.long 0x7EF214F9, 0x0006147A
.long 0x7EF214F9, 0x0006157B
.long 0xD9BE0C00, 0x00007650
.long 0xD89A0000, 0x00005C51
.long 0xD89A0220, 0x00005E51
.long 0xD89A0440, 0x00006051
.long 0xD89A0660, 0x00006251
.long 0xD89A0880, 0x00006451
.long 0xD89A0AA0, 0x00006651
.long 0xD89A0CC0, 0x00006851
.long 0xD89A0EE0, 0x00006A51
.long 0xD89A1100, 0x00006C51
.long 0xD89A1320, 0x00006E51
.long 0xD89A1540, 0x00007051
.long 0xD89A1760, 0x00007251
.long 0xBF8CC07F
.long 0xBF8A0000
.long 0xD9FE0000, 0x00000074
.long 0xD9FE0200, 0x04000074
	;; [unrolled: 1-line block ×17, first 2 shown]
.long 0x32E8E848
.long 0xBEC800A0
	;; [unrolled: 1-line block ×4, first 2 shown]
.long 0xD1ED0076, 0x00E60104
.long 0xD1ED0000, 0x00E20104
.long 0xD1ED0077, 0x00E2110C
.long 0xD1ED0078, 0x00E6110C
.long 0xD1ED0004, 0x00E20305
.long 0xD1ED0079, 0x00E60305
.long 0x7E020377
.long 0xD1ED0005, 0x00E2130D
.long 0xD1ED0077, 0x00E6130D
	;; [unrolled: 1-line block ×6, first 2 shown]
.long 0x7E040376
.long 0x7E0C0379
.long 0xD1ED000C, 0x00E20707
.long 0xD1ED000D, 0x00E2170F
	;; [unrolled: 1-line block ×3, first 2 shown]
.long 0x7E060378
.long 0x7E0E0377
.long 0xD1ED000F, 0x00E6170F
.long 0x7E16037A
.long 0x26C0FEBF
	;; [unrolled: 1-line block ×4, first 2 shown]
.long 0xD0C60048, 0x00000B60
.long 0xD1000000, 0x01210100
	;; [unrolled: 1-line block ×41, first 2 shown]
.long 0x6AC0C005
.long 0xD0C10048, 0x00010960
.long 0x864A8305
.long 0x80CA4A84
	;; [unrolled: 1-line block ×3, first 2 shown]
.long 0xD28F0062, 0x0002004A
.long 0xD1000000, 0x0122C500
	;; [unrolled: 1-line block ×60, first 2 shown]
.long 0xBF800001
.long 0xD3CD8000, 0x04020120
.long 0xD3CD8004, 0x04120520
	;; [unrolled: 1-line block ×96, first 2 shown]
.long 0x81859005
.long 0x80089008
	;; [unrolled: 1-line block ×6, first 2 shown]
.long 0xC00E0B00, 0x00000058
.long 0xC00A0D00, 0x00000078
	;; [unrolled: 1-line block ×3, first 2 shown]
.long 0xBF82000A
.long 0xC00A0B03, 0x00000070
.long 0xC00A0C03, 0x00000090
	;; [unrolled: 1-line block ×5, first 2 shown]
.long 0x2008FE86
.long 0x200A0881
.long 0xD2850005, 0x00020A90
.long 0x2602FEBF
.long 0x20020284
	;; [unrolled: 1-line block ×3, first 2 shown]
.long 0xD1FE0001, 0x02020305
.long 0xD2850002, 0x00004501
	;; [unrolled: 1-line block ×3, first 2 shown]
.long 0x26000881
.long 0xD2850000, 0x00020090
.long 0x260AFE8F
.long 0xD1FE0000, 0x020E0105
.long 0x922B02FF, 0x00000100
.long 0x6800002B
.long 0x922B03FF, 0x00000180
.long 0x6802022B
.long 0xBF8CC07F
	;; [unrolled: 1-line block ×5, first 2 shown]
.long 0xC0020AD6, 0x00000000
.long 0xBEB900F2
.long 0xBF12802E
	;; [unrolled: 1-line block ×3, first 2 shown]
.long 0xC0020E57, 0x00000000
.long 0xBEBC0030
.long 0xBEBD0031
.long 0xBEBF00FF, 0x00020000
.long 0xBF128030
.long 0xBF840002
	;; [unrolled: 1-line block ×12, first 2 shown]
.long 0xBEC300FF, 0x00020000
.long 0xBF128032
.long 0xBF840002
	;; [unrolled: 1-line block ×8, first 2 shown]
.long 0x923A02FF, 0x00000100
.long 0x6810FE3A
.long 0x923A0435
	;; [unrolled: 1-line block ×4, first 2 shown]
.long 0xE0501000, 0x80100408
.long 0x2410FE82
.long 0xBF8C0F70
.long 0xBF8A0000
.long 0xD81A0000, 0x00000408
.long 0xBF820012
.long 0xB4B40004
.long 0xBF850010
.long 0x92424282
.long 0x923A02FF, 0x00000100
.long 0x6810FE3A
	;; [unrolled: 5-line block ×4, first 2 shown]
.long 0x7E080228
.long 0xBF8CC07F
.long 0xD1050004, 0x00005704
.long 0xD1050004, 0x00007304
.long 0xBF800000
.long 0x7E500504
.long 0xB4380001
.long 0xBF850014
.long 0xB4380002
.long 0xBF850018
.long 0xB4380003
.long 0xBF85001C
.long 0xB4380004
.long 0xBF850020
.long 0xB4380005
.long 0xBF850024
.long 0xB4380006
.long 0xBF850028
.long 0xB4380007
.long 0xBF85002C
.long 0xB4380009
.long 0xBF850030
.long 0xBEBA1C00
.long 0x812B84FF, 0x00013CC0
.long 0x803A2B3A
.long 0x823B803B
.long 0xBF820030
.long 0xBEBA1C00
.long 0x812B84FF, 0x00013CAC
.long 0x803A2B3A
.long 0x823B803B
.long 0xBF82002A
.long 0xBEBA1C00
	;; [unrolled: 5-line block ×9, first 2 shown]
.long 0xBF842256
.long 0x864614FF, 0x000000FF
.long 0x804709C1
.long 0xBF094702
	;; [unrolled: 1-line block ×6, first 2 shown]
.long 0x924815FF, 0x00000155
.long 0x8EC89048
.long 0x9247FF15, 0x00005556
.long 0x80484847
.long 0x82498049
.long 0x8FC8A148
.long 0xBEC70048
.long 0x9248FF47, 0x00000180
.long 0x80C64815
.long 0x80470AC1
	;; [unrolled: 1-line block ×6, first 2 shown]
.long 0x924602FF, 0x00000100
.long 0xD135000F, 0x00008D00
.long 0x241E1E82
.long 0xBF8CC07F
	;; [unrolled: 1-line block ×3, first 2 shown]
.long 0xD9FE0000, 0x1800000F
.long 0xD9FE0010, 0x1C00000F
.long 0x24200082
.long 0xE05C1000, 0x800F2010
.long 0xE05C1010, 0x800F2410
.long 0xD1FE000D, 0x020A0103
.long 0xD3D84028, 0x18000100
.long 0xD3D84029, 0x18000104
.long 0xD3D8402A, 0x18000108
.long 0xD3D8402B, 0x1800010C
.long 0xD3D8402C, 0x18000110
.long 0xD3D8402D, 0x18000114
.long 0xD3D8402E, 0x18000118
.long 0xD3D8402F, 0x1800011C
.long 0xD3D84030, 0x18000101
.long 0xD3D84031, 0x18000105
.long 0xD3D84032, 0x18000109
.long 0xD3D84033, 0x1800010D
.long 0xD3D84034, 0x18000111
.long 0xD3D84035, 0x18000115
.long 0xD3D84036, 0x18000119
.long 0xD3D84037, 0x1800011D
.long 0xD3D84038, 0x18000102
.long 0xD3D84039, 0x18000106
.long 0xD3D8403A, 0x1800010A
.long 0xD3D8403B, 0x1800010E
.long 0xD3D8403C, 0x18000112
.long 0xD3D8403D, 0x18000116
.long 0xD3D8403E, 0x1800011A
.long 0xD3D8403F, 0x1800011E
.long 0xD3D84040, 0x18000103
.long 0xD3D84041, 0x18000107
.long 0xD3D84042, 0x1800010B
.long 0xD3D84043, 0x1800010F
.long 0xD3D84044, 0x18000113
.long 0xD3D84045, 0x18000117
.long 0xD3D84046, 0x1800011B
.long 0xD3D84047, 0x1800011F
.long 0xBF800001
.long 0x0A505028
	;; [unrolled: 1-line block ×34, first 2 shown]
.long 0xD0CC0030, 0x0001003E
.long 0xD1000020, 0x00C240F2
	;; [unrolled: 1-line block ×20, first 2 shown]
.long 0xBEC41E3A
.long 0x7E500304
.long 0x7E520305
.long 0x7E540306
.long 0x7E560307
.long 0x7E580308
.long 0x7E5A0309
.long 0x7E5C030A
.long 0x7E5E030B
.long 0xE07C1000, 0x8003280D
.long 0xE07C1010, 0x80032C0D
.long 0xD0CC0030, 0x0001003E
.long 0xD1000020, 0x00C240F2
.long 0xD1000021, 0x00C242F2
.long 0xD3B14030, 0x18026120
.long 0xD0CC0030, 0x0001003E
.long 0xD1000022, 0x00C244F2
.long 0xD1000023, 0x00C246F2
.long 0xD3B14032, 0x18026522
.long 0xD0CC0030, 0x0001003E
.long 0xD1000024, 0x00C248F2
.long 0xD1000025, 0x00C24AF2
.long 0xD3B14034, 0x18026924
.long 0xD0CC0030, 0x0001003E
.long 0xD1000026, 0x00C24CF2
.long 0xD1000027, 0x00C24EF2
.long 0xD3B14036, 0x18026D26
.long 0xD3B24004, 0x18026118
.long 0xD3B24006, 0x1802651A
.long 0xD3B24008, 0x1802691C
.long 0xD3B2400A, 0x18026D1E
.long 0xBEC41E3A
.long 0x7E600304
.long 0x7E620305
.long 0x7E640306
.long 0x7E660307
.long 0x7E680308
.long 0x7E6A0309
.long 0x7E6C030A
.long 0x7E6E030B
.long 0x8E468220
.long 0x800C460C
.long 0x820D800D
.long 0xE07C1000, 0x8003300D
.long 0xE07C1010, 0x8003340D
.long 0xD0CC0030, 0x0001003E
.long 0xD1000020, 0x00C240F2
.long 0xD1000021, 0x00C242F2
.long 0xD3B14038, 0x18027120
.long 0xD0CC0030, 0x0001003E
.long 0xD1000022, 0x00C244F2
.long 0xD1000023, 0x00C246F2
.long 0xD3B1403A, 0x18027522
.long 0xD0CC0030, 0x0001003E
.long 0xD1000024, 0x00C248F2
.long 0xD1000025, 0x00C24AF2
.long 0xD3B1403C, 0x18027924
.long 0xD0CC0030, 0x0001003E
.long 0xD1000026, 0x00C24CF2
.long 0xD1000027, 0x00C24EF2
.long 0xD3B1403E, 0x18027D26
.long 0xD3B24004, 0x18027118
.long 0xD3B24006, 0x1802751A
.long 0xD3B24008, 0x1802791C
.long 0xD3B2400A, 0x18027D1E
.long 0xBEC41E3A
.long 0x7E700304
.long 0x7E720305
.long 0x7E740306
.long 0x7E760307
.long 0x7E780308
.long 0x7E7A0309
.long 0x7E7C030A
.long 0x7E7E030B
.long 0x8E468220
.long 0x800C460C
.long 0x820D800D
.long 0xE07C1000, 0x8003380D
.long 0xE07C1010, 0x80033C0D
.long 0xD0CC0030, 0x0001003E
.long 0xD1000020, 0x00C240F2
.long 0xD1000021, 0x00C242F2
.long 0xD3B14040, 0x18028120
.long 0xD0CC0030, 0x0001003E
.long 0xD1000022, 0x00C244F2
.long 0xD1000023, 0x00C246F2
.long 0xD3B14042, 0x18028522
.long 0xD0CC0030, 0x0001003E
.long 0xD1000024, 0x00C248F2
.long 0xD1000025, 0x00C24AF2
.long 0xD3B14044, 0x18028924
.long 0xD0CC0030, 0x0001003E
.long 0xD1000026, 0x00C24CF2
.long 0xD1000027, 0x00C24EF2
.long 0xD3B14046, 0x18028D26
.long 0xD3B24004, 0x18028118
.long 0xD3B24006, 0x1802851A
.long 0xD3B24008, 0x1802891C
.long 0xD3B2400A, 0x18028D1E
.long 0xBEC41E3A
.long 0x7E800304
.long 0x7E820305
.long 0x7E840306
.long 0x7E860307
.long 0x7E880308
.long 0x7E8A0309
.long 0x7E8C030A
.long 0x7E8E030B
.long 0x8E468220
.long 0x800C460C
.long 0x820D800D
.long 0xE07C1000, 0x8003400D
.long 0xE07C1010, 0x8003440D
.long 0xBF800000
.long 0x924602FF, 0x00000100
.long 0xD135000F, 0x00008D00
.long 0x241E1E82
.long 0xD9FE0000, 0x1800000F
.long 0xD9FE0010, 0x1C00000F
	;; [unrolled: 1-line block ×36, first 2 shown]
.long 0xBF800001
.long 0x0A505028
	;; [unrolled: 1-line block ×34, first 2 shown]
.long 0xD0CC0030, 0x0001003E
.long 0xD1000020, 0x00C240F2
	;; [unrolled: 1-line block ×20, first 2 shown]
.long 0xBEC41E3A
.long 0x7E500304
	;; [unrolled: 1-line block ×9, first 2 shown]
.long 0x9246FF20, 0x00000074
.long 0x800C460C
.long 0x820D800D
.long 0xE07C1000, 0x8003280D
.long 0xE07C1010, 0x80032C0D
.long 0xD0CC0030, 0x0001003E
.long 0xD1000020, 0x00C240F2
.long 0xD1000021, 0x00C242F2
.long 0xD3B14030, 0x18026120
.long 0xD0CC0030, 0x0001003E
.long 0xD1000022, 0x00C244F2
.long 0xD1000023, 0x00C246F2
.long 0xD3B14032, 0x18026522
.long 0xD0CC0030, 0x0001003E
.long 0xD1000024, 0x00C248F2
.long 0xD1000025, 0x00C24AF2
.long 0xD3B14034, 0x18026924
.long 0xD0CC0030, 0x0001003E
.long 0xD1000026, 0x00C24CF2
.long 0xD1000027, 0x00C24EF2
.long 0xD3B14036, 0x18026D26
.long 0xD3B24004, 0x18026118
.long 0xD3B24006, 0x1802651A
.long 0xD3B24008, 0x1802691C
.long 0xD3B2400A, 0x18026D1E
.long 0xBEC41E3A
.long 0x7E600304
.long 0x7E620305
.long 0x7E640306
.long 0x7E660307
.long 0x7E680308
.long 0x7E6A0309
.long 0x7E6C030A
.long 0x7E6E030B
.long 0x8E468220
.long 0x800C460C
.long 0x820D800D
.long 0xE07C1000, 0x8003300D
.long 0xE07C1010, 0x8003340D
.long 0xD0CC0030, 0x0001003E
.long 0xD1000020, 0x00C240F2
.long 0xD1000021, 0x00C242F2
.long 0xD3B14038, 0x18027120
.long 0xD0CC0030, 0x0001003E
.long 0xD1000022, 0x00C244F2
.long 0xD1000023, 0x00C246F2
.long 0xD3B1403A, 0x18027522
.long 0xD0CC0030, 0x0001003E
.long 0xD1000024, 0x00C248F2
.long 0xD1000025, 0x00C24AF2
.long 0xD3B1403C, 0x18027924
.long 0xD0CC0030, 0x0001003E
.long 0xD1000026, 0x00C24CF2
.long 0xD1000027, 0x00C24EF2
.long 0xD3B1403E, 0x18027D26
.long 0xD3B24004, 0x18027118
.long 0xD3B24006, 0x1802751A
.long 0xD3B24008, 0x1802791C
.long 0xD3B2400A, 0x18027D1E
.long 0xBEC41E3A
.long 0x7E700304
.long 0x7E720305
.long 0x7E740306
.long 0x7E760307
.long 0x7E780308
.long 0x7E7A0309
.long 0x7E7C030A
.long 0x7E7E030B
.long 0x8E468220
	;; [unrolled: 34-line block ×3, first 2 shown]
.long 0x800C460C
.long 0x820D800D
.long 0xE07C1000, 0x8003400D
.long 0xE07C1010, 0x8003440D
.long 0xBF800000
.long 0x924602FF, 0x00000100
.long 0xD135000F, 0x00008D00
	;; [unrolled: 3-line block ×3, first 2 shown]
.long 0xE05C1000, 0x800F2010
.long 0xE05C1010, 0x800F2410
	;; [unrolled: 1-line block ×34, first 2 shown]
.long 0xBF800001
.long 0x0A505028
	;; [unrolled: 1-line block ×34, first 2 shown]
.long 0xD0CC0030, 0x0001003E
.long 0xD1000020, 0x00C240F2
	;; [unrolled: 1-line block ×20, first 2 shown]
.long 0xBEC41E3A
.long 0x7E500304
	;; [unrolled: 1-line block ×9, first 2 shown]
.long 0x9246FF20, 0x00000074
.long 0x800C460C
.long 0x820D800D
.long 0xE07C1000, 0x8003280D
.long 0xE07C1010, 0x80032C0D
.long 0xD0CC0030, 0x0001003E
.long 0xD1000020, 0x00C240F2
.long 0xD1000021, 0x00C242F2
.long 0xD3B14030, 0x18026120
.long 0xD0CC0030, 0x0001003E
.long 0xD1000022, 0x00C244F2
.long 0xD1000023, 0x00C246F2
.long 0xD3B14032, 0x18026522
.long 0xD0CC0030, 0x0001003E
.long 0xD1000024, 0x00C248F2
.long 0xD1000025, 0x00C24AF2
.long 0xD3B14034, 0x18026924
.long 0xD0CC0030, 0x0001003E
.long 0xD1000026, 0x00C24CF2
.long 0xD1000027, 0x00C24EF2
.long 0xD3B14036, 0x18026D26
.long 0xD3B24004, 0x18026118
.long 0xD3B24006, 0x1802651A
.long 0xD3B24008, 0x1802691C
.long 0xD3B2400A, 0x18026D1E
.long 0xBEC41E3A
.long 0x7E600304
.long 0x7E620305
.long 0x7E640306
.long 0x7E660307
.long 0x7E680308
.long 0x7E6A0309
.long 0x7E6C030A
.long 0x7E6E030B
.long 0x8E468220
.long 0x800C460C
.long 0x820D800D
.long 0xE07C1000, 0x8003300D
.long 0xE07C1010, 0x8003340D
.long 0xD0CC0030, 0x0001003E
.long 0xD1000020, 0x00C240F2
.long 0xD1000021, 0x00C242F2
.long 0xD3B14038, 0x18027120
.long 0xD0CC0030, 0x0001003E
.long 0xD1000022, 0x00C244F2
.long 0xD1000023, 0x00C246F2
.long 0xD3B1403A, 0x18027522
.long 0xD0CC0030, 0x0001003E
.long 0xD1000024, 0x00C248F2
.long 0xD1000025, 0x00C24AF2
.long 0xD3B1403C, 0x18027924
.long 0xD0CC0030, 0x0001003E
.long 0xD1000026, 0x00C24CF2
.long 0xD1000027, 0x00C24EF2
.long 0xD3B1403E, 0x18027D26
.long 0xD3B24004, 0x18027118
.long 0xD3B24006, 0x1802751A
.long 0xD3B24008, 0x1802791C
.long 0xD3B2400A, 0x18027D1E
.long 0xBEC41E3A
.long 0x7E700304
.long 0x7E720305
.long 0x7E740306
.long 0x7E760307
.long 0x7E780308
.long 0x7E7A0309
.long 0x7E7C030A
.long 0x7E7E030B
.long 0x8E468220
	;; [unrolled: 34-line block ×3, first 2 shown]
.long 0x800C460C
.long 0x820D800D
.long 0xE07C1000, 0x8003400D
.long 0xE07C1010, 0x8003440D
.long 0xBF800000
.long 0x924602FF, 0x00000100
.long 0xD135000F, 0x00008D00
	;; [unrolled: 3-line block ×3, first 2 shown]
.long 0xE05C1000, 0x800F2010
.long 0xE05C1010, 0x800F2410
	;; [unrolled: 1-line block ×34, first 2 shown]
.long 0xBF800001
.long 0x0A505028
	;; [unrolled: 1-line block ×34, first 2 shown]
.long 0xD0CC0030, 0x0001003E
.long 0xD1000020, 0x00C240F2
	;; [unrolled: 1-line block ×20, first 2 shown]
.long 0xBEC41E3A
.long 0x7E500304
	;; [unrolled: 1-line block ×9, first 2 shown]
.long 0x9246FF20, 0x00000074
.long 0x800C460C
.long 0x820D800D
.long 0xE07C1000, 0x8003280D
.long 0xE07C1010, 0x80032C0D
.long 0xD0CC0030, 0x0001003E
.long 0xD1000020, 0x00C240F2
.long 0xD1000021, 0x00C242F2
.long 0xD3B14030, 0x18026120
.long 0xD0CC0030, 0x0001003E
.long 0xD1000022, 0x00C244F2
.long 0xD1000023, 0x00C246F2
.long 0xD3B14032, 0x18026522
.long 0xD0CC0030, 0x0001003E
.long 0xD1000024, 0x00C248F2
.long 0xD1000025, 0x00C24AF2
.long 0xD3B14034, 0x18026924
.long 0xD0CC0030, 0x0001003E
.long 0xD1000026, 0x00C24CF2
.long 0xD1000027, 0x00C24EF2
.long 0xD3B14036, 0x18026D26
.long 0xD3B24004, 0x18026118
.long 0xD3B24006, 0x1802651A
.long 0xD3B24008, 0x1802691C
.long 0xD3B2400A, 0x18026D1E
.long 0xBEC41E3A
.long 0x7E600304
.long 0x7E620305
.long 0x7E640306
.long 0x7E660307
.long 0x7E680308
.long 0x7E6A0309
.long 0x7E6C030A
.long 0x7E6E030B
.long 0x8E468220
.long 0x800C460C
.long 0x820D800D
.long 0xE07C1000, 0x8003300D
.long 0xE07C1010, 0x8003340D
.long 0xD0CC0030, 0x0001003E
.long 0xD1000020, 0x00C240F2
.long 0xD1000021, 0x00C242F2
.long 0xD3B14038, 0x18027120
.long 0xD0CC0030, 0x0001003E
.long 0xD1000022, 0x00C244F2
.long 0xD1000023, 0x00C246F2
.long 0xD3B1403A, 0x18027522
.long 0xD0CC0030, 0x0001003E
.long 0xD1000024, 0x00C248F2
.long 0xD1000025, 0x00C24AF2
.long 0xD3B1403C, 0x18027924
.long 0xD0CC0030, 0x0001003E
.long 0xD1000026, 0x00C24CF2
.long 0xD1000027, 0x00C24EF2
.long 0xD3B1403E, 0x18027D26
.long 0xD3B24004, 0x18027118
.long 0xD3B24006, 0x1802751A
.long 0xD3B24008, 0x1802791C
.long 0xD3B2400A, 0x18027D1E
.long 0xBEC41E3A
.long 0x7E700304
.long 0x7E720305
.long 0x7E740306
.long 0x7E760307
.long 0x7E780308
.long 0x7E7A0309
.long 0x7E7C030A
.long 0x7E7E030B
.long 0x8E468220
	;; [unrolled: 34-line block ×3, first 2 shown]
.long 0x800C460C
.long 0x820D800D
.long 0xE07C1000, 0x8003400D
.long 0xE07C1010, 0x8003440D
.long 0xBF800000
.long 0x924602FF, 0x00000100
.long 0xD135000F, 0x00008D00
	;; [unrolled: 3-line block ×3, first 2 shown]
.long 0xE05C1000, 0x800F2010
.long 0xE05C1010, 0x800F2410
	;; [unrolled: 1-line block ×34, first 2 shown]
.long 0xBF800001
.long 0x0A505028
	;; [unrolled: 1-line block ×34, first 2 shown]
.long 0xD0CC0030, 0x0001003E
.long 0xD1000020, 0x00C240F2
	;; [unrolled: 1-line block ×20, first 2 shown]
.long 0xBEC41E3A
.long 0x7E500304
	;; [unrolled: 1-line block ×9, first 2 shown]
.long 0x9246FF20, 0x00000074
.long 0x800C460C
.long 0x820D800D
.long 0xE07C1000, 0x8003280D
.long 0xE07C1010, 0x80032C0D
.long 0xD0CC0030, 0x0001003E
.long 0xD1000020, 0x00C240F2
.long 0xD1000021, 0x00C242F2
.long 0xD3B14030, 0x18026120
.long 0xD0CC0030, 0x0001003E
.long 0xD1000022, 0x00C244F2
.long 0xD1000023, 0x00C246F2
.long 0xD3B14032, 0x18026522
.long 0xD0CC0030, 0x0001003E
.long 0xD1000024, 0x00C248F2
.long 0xD1000025, 0x00C24AF2
.long 0xD3B14034, 0x18026924
.long 0xD0CC0030, 0x0001003E
.long 0xD1000026, 0x00C24CF2
.long 0xD1000027, 0x00C24EF2
.long 0xD3B14036, 0x18026D26
.long 0xD3B24004, 0x18026118
.long 0xD3B24006, 0x1802651A
.long 0xD3B24008, 0x1802691C
.long 0xD3B2400A, 0x18026D1E
.long 0xBEC41E3A
.long 0x7E600304
.long 0x7E620305
.long 0x7E640306
.long 0x7E660307
.long 0x7E680308
.long 0x7E6A0309
.long 0x7E6C030A
.long 0x7E6E030B
.long 0x8E468220
.long 0x800C460C
.long 0x820D800D
.long 0xE07C1000, 0x8003300D
.long 0xE07C1010, 0x8003340D
.long 0xD0CC0030, 0x0001003E
.long 0xD1000020, 0x00C240F2
.long 0xD1000021, 0x00C242F2
.long 0xD3B14038, 0x18027120
.long 0xD0CC0030, 0x0001003E
.long 0xD1000022, 0x00C244F2
.long 0xD1000023, 0x00C246F2
.long 0xD3B1403A, 0x18027522
.long 0xD0CC0030, 0x0001003E
.long 0xD1000024, 0x00C248F2
.long 0xD1000025, 0x00C24AF2
.long 0xD3B1403C, 0x18027924
.long 0xD0CC0030, 0x0001003E
.long 0xD1000026, 0x00C24CF2
.long 0xD1000027, 0x00C24EF2
.long 0xD3B1403E, 0x18027D26
.long 0xD3B24004, 0x18027118
.long 0xD3B24006, 0x1802751A
.long 0xD3B24008, 0x1802791C
.long 0xD3B2400A, 0x18027D1E
.long 0xBEC41E3A
.long 0x7E700304
.long 0x7E720305
.long 0x7E740306
.long 0x7E760307
.long 0x7E780308
.long 0x7E7A0309
.long 0x7E7C030A
.long 0x7E7E030B
.long 0x8E468220
	;; [unrolled: 34-line block ×3, first 2 shown]
.long 0x800C460C
.long 0x820D800D
.long 0xE07C1000, 0x8003400D
.long 0xE07C1010, 0x8003440D
.long 0xBF800000
.long 0x924602FF, 0x00000100
.long 0xD135000F, 0x00008D00
	;; [unrolled: 3-line block ×3, first 2 shown]
.long 0xE05C1000, 0x800F2010
.long 0xE05C1010, 0x800F2410
	;; [unrolled: 1-line block ×34, first 2 shown]
.long 0xBF800001
.long 0x0A505028
	;; [unrolled: 1-line block ×34, first 2 shown]
.long 0xD0CC0030, 0x0001003E
.long 0xD1000020, 0x00C240F2
	;; [unrolled: 1-line block ×20, first 2 shown]
.long 0xBEC41E3A
.long 0x7E500304
	;; [unrolled: 1-line block ×9, first 2 shown]
.long 0x9246FF20, 0x00000074
.long 0x800C460C
.long 0x820D800D
.long 0xE07C1000, 0x8003280D
.long 0xE07C1010, 0x80032C0D
.long 0xD0CC0030, 0x0001003E
.long 0xD1000020, 0x00C240F2
.long 0xD1000021, 0x00C242F2
.long 0xD3B14030, 0x18026120
.long 0xD0CC0030, 0x0001003E
.long 0xD1000022, 0x00C244F2
.long 0xD1000023, 0x00C246F2
.long 0xD3B14032, 0x18026522
.long 0xD0CC0030, 0x0001003E
.long 0xD1000024, 0x00C248F2
.long 0xD1000025, 0x00C24AF2
.long 0xD3B14034, 0x18026924
.long 0xD0CC0030, 0x0001003E
.long 0xD1000026, 0x00C24CF2
.long 0xD1000027, 0x00C24EF2
.long 0xD3B14036, 0x18026D26
.long 0xD3B24004, 0x18026118
.long 0xD3B24006, 0x1802651A
.long 0xD3B24008, 0x1802691C
.long 0xD3B2400A, 0x18026D1E
.long 0xBEC41E3A
.long 0x7E600304
.long 0x7E620305
.long 0x7E640306
.long 0x7E660307
.long 0x7E680308
.long 0x7E6A0309
.long 0x7E6C030A
.long 0x7E6E030B
.long 0x8E468220
.long 0x800C460C
.long 0x820D800D
.long 0xE07C1000, 0x8003300D
.long 0xE07C1010, 0x8003340D
.long 0xD0CC0030, 0x0001003E
.long 0xD1000020, 0x00C240F2
.long 0xD1000021, 0x00C242F2
.long 0xD3B14038, 0x18027120
.long 0xD0CC0030, 0x0001003E
.long 0xD1000022, 0x00C244F2
.long 0xD1000023, 0x00C246F2
.long 0xD3B1403A, 0x18027522
.long 0xD0CC0030, 0x0001003E
.long 0xD1000024, 0x00C248F2
.long 0xD1000025, 0x00C24AF2
.long 0xD3B1403C, 0x18027924
.long 0xD0CC0030, 0x0001003E
.long 0xD1000026, 0x00C24CF2
.long 0xD1000027, 0x00C24EF2
.long 0xD3B1403E, 0x18027D26
.long 0xD3B24004, 0x18027118
.long 0xD3B24006, 0x1802751A
.long 0xD3B24008, 0x1802791C
.long 0xD3B2400A, 0x18027D1E
.long 0xBEC41E3A
.long 0x7E700304
.long 0x7E720305
.long 0x7E740306
.long 0x7E760307
.long 0x7E780308
.long 0x7E7A0309
.long 0x7E7C030A
.long 0x7E7E030B
.long 0x8E468220
	;; [unrolled: 34-line block ×3, first 2 shown]
.long 0x800C460C
.long 0x820D800D
.long 0xE07C1000, 0x8003400D
.long 0xE07C1010, 0x8003440D
.long 0xBF800000
.long 0x924602FF, 0x00000100
.long 0xD135000F, 0x00008D00
	;; [unrolled: 3-line block ×3, first 2 shown]
.long 0xE05C1000, 0x800F2010
.long 0xE05C1010, 0x800F2410
	;; [unrolled: 1-line block ×34, first 2 shown]
.long 0xBF800001
.long 0x0A505028
	;; [unrolled: 1-line block ×34, first 2 shown]
.long 0xD0CC0030, 0x0001003E
.long 0xD1000020, 0x00C240F2
.long 0xD1000021, 0x00C242F2
.long 0xD3B14028, 0x18025120
.long 0xD0CC0030, 0x0001003E
.long 0xD1000022, 0x00C244F2
.long 0xD1000023, 0x00C246F2
.long 0xD3B1402A, 0x18025522
.long 0xD0CC0030, 0x0001003E
.long 0xD1000024, 0x00C248F2
.long 0xD1000025, 0x00C24AF2
.long 0xD3B1402C, 0x18025924
.long 0xD0CC0030, 0x0001003E
.long 0xD1000026, 0x00C24CF2
.long 0xD1000027, 0x00C24EF2
.long 0xD3B1402E, 0x18025D26
.long 0xD3B24004, 0x18025118
.long 0xD3B24006, 0x1802551A
.long 0xD3B24008, 0x1802591C
.long 0xD3B2400A, 0x18025D1E
.long 0xBEC41E3A
.long 0x7E500304
	;; [unrolled: 1-line block ×9, first 2 shown]
.long 0x9246FF20, 0x00000074
.long 0x800C460C
.long 0x820D800D
.long 0xE07C1000, 0x8003280D
.long 0xE07C1010, 0x80032C0D
.long 0xD0CC0030, 0x0001003E
.long 0xD1000020, 0x00C240F2
.long 0xD1000021, 0x00C242F2
.long 0xD3B14030, 0x18026120
.long 0xD0CC0030, 0x0001003E
.long 0xD1000022, 0x00C244F2
.long 0xD1000023, 0x00C246F2
.long 0xD3B14032, 0x18026522
.long 0xD0CC0030, 0x0001003E
.long 0xD1000024, 0x00C248F2
.long 0xD1000025, 0x00C24AF2
.long 0xD3B14034, 0x18026924
.long 0xD0CC0030, 0x0001003E
.long 0xD1000026, 0x00C24CF2
.long 0xD1000027, 0x00C24EF2
.long 0xD3B14036, 0x18026D26
.long 0xD3B24004, 0x18026118
.long 0xD3B24006, 0x1802651A
.long 0xD3B24008, 0x1802691C
.long 0xD3B2400A, 0x18026D1E
.long 0xBEC41E3A
.long 0x7E600304
.long 0x7E620305
.long 0x7E640306
.long 0x7E660307
.long 0x7E680308
.long 0x7E6A0309
.long 0x7E6C030A
.long 0x7E6E030B
.long 0x8E468220
.long 0x800C460C
.long 0x820D800D
.long 0xE07C1000, 0x8003300D
.long 0xE07C1010, 0x8003340D
.long 0xD0CC0030, 0x0001003E
.long 0xD1000020, 0x00C240F2
.long 0xD1000021, 0x00C242F2
.long 0xD3B14038, 0x18027120
.long 0xD0CC0030, 0x0001003E
.long 0xD1000022, 0x00C244F2
.long 0xD1000023, 0x00C246F2
.long 0xD3B1403A, 0x18027522
.long 0xD0CC0030, 0x0001003E
.long 0xD1000024, 0x00C248F2
.long 0xD1000025, 0x00C24AF2
.long 0xD3B1403C, 0x18027924
.long 0xD0CC0030, 0x0001003E
.long 0xD1000026, 0x00C24CF2
.long 0xD1000027, 0x00C24EF2
.long 0xD3B1403E, 0x18027D26
.long 0xD3B24004, 0x18027118
.long 0xD3B24006, 0x1802751A
.long 0xD3B24008, 0x1802791C
.long 0xD3B2400A, 0x18027D1E
.long 0xBEC41E3A
.long 0x7E700304
.long 0x7E720305
.long 0x7E740306
.long 0x7E760307
.long 0x7E780308
.long 0x7E7A0309
.long 0x7E7C030A
.long 0x7E7E030B
.long 0x8E468220
	;; [unrolled: 34-line block ×3, first 2 shown]
.long 0x800C460C
.long 0x820D800D
.long 0xE07C1000, 0x8003400D
.long 0xE07C1010, 0x8003440D
.long 0xBF800000
.long 0x924602FF, 0x00000100
.long 0xD135000F, 0x00008D00
.long 0x241E1E82
.long 0xD9FE0000, 0x1800000F
.long 0xD9FE0010, 0x1C00000F
.long 0xE05C1000, 0x800F2010
.long 0xE05C1010, 0x800F2410
	;; [unrolled: 1-line block ×34, first 2 shown]
.long 0xBF800001
.long 0x0A505028
	;; [unrolled: 1-line block ×34, first 2 shown]
.long 0xD0CC0030, 0x0001003E
.long 0xD1000020, 0x00C240F2
	;; [unrolled: 1-line block ×20, first 2 shown]
.long 0xBEC41E3A
.long 0x7E500304
	;; [unrolled: 1-line block ×9, first 2 shown]
.long 0x9246FF20, 0x00000074
.long 0x800C460C
.long 0x820D800D
.long 0xE07C1000, 0x8003280D
.long 0xE07C1010, 0x80032C0D
.long 0xD0CC0030, 0x0001003E
.long 0xD1000020, 0x00C240F2
.long 0xD1000021, 0x00C242F2
.long 0xD3B14030, 0x18026120
.long 0xD0CC0030, 0x0001003E
.long 0xD1000022, 0x00C244F2
.long 0xD1000023, 0x00C246F2
.long 0xD3B14032, 0x18026522
.long 0xD0CC0030, 0x0001003E
.long 0xD1000024, 0x00C248F2
.long 0xD1000025, 0x00C24AF2
.long 0xD3B14034, 0x18026924
.long 0xD0CC0030, 0x0001003E
.long 0xD1000026, 0x00C24CF2
.long 0xD1000027, 0x00C24EF2
.long 0xD3B14036, 0x18026D26
.long 0xD3B24004, 0x18026118
.long 0xD3B24006, 0x1802651A
.long 0xD3B24008, 0x1802691C
.long 0xD3B2400A, 0x18026D1E
.long 0xBEC41E3A
.long 0x7E600304
.long 0x7E620305
.long 0x7E640306
.long 0x7E660307
.long 0x7E680308
.long 0x7E6A0309
.long 0x7E6C030A
.long 0x7E6E030B
.long 0x8E468220
.long 0x800C460C
.long 0x820D800D
.long 0xE07C1000, 0x8003300D
.long 0xE07C1010, 0x8003340D
.long 0xD0CC0030, 0x0001003E
.long 0xD1000020, 0x00C240F2
.long 0xD1000021, 0x00C242F2
.long 0xD3B14038, 0x18027120
.long 0xD0CC0030, 0x0001003E
.long 0xD1000022, 0x00C244F2
.long 0xD1000023, 0x00C246F2
.long 0xD3B1403A, 0x18027522
.long 0xD0CC0030, 0x0001003E
.long 0xD1000024, 0x00C248F2
.long 0xD1000025, 0x00C24AF2
.long 0xD3B1403C, 0x18027924
.long 0xD0CC0030, 0x0001003E
.long 0xD1000026, 0x00C24CF2
.long 0xD1000027, 0x00C24EF2
.long 0xD3B1403E, 0x18027D26
.long 0xD3B24004, 0x18027118
.long 0xD3B24006, 0x1802751A
.long 0xD3B24008, 0x1802791C
.long 0xD3B2400A, 0x18027D1E
.long 0xBEC41E3A
.long 0x7E700304
.long 0x7E720305
.long 0x7E740306
.long 0x7E760307
.long 0x7E780308
.long 0x7E7A0309
.long 0x7E7C030A
.long 0x7E7E030B
.long 0x8E468220
	;; [unrolled: 34-line block ×3, first 2 shown]
.long 0x800C460C
.long 0x820D800D
.long 0xE07C1000, 0x8003400D
.long 0xE07C1010, 0x8003440D
.long 0xBF800000
.long 0x924602FF, 0x00000100
.long 0xD135000F, 0x00008D00
	;; [unrolled: 3-line block ×3, first 2 shown]
.long 0xE05C1000, 0x800F2010
.long 0xE05C1010, 0x800F2410
.long 0x7E500380
.long 0x7E520384
	;; [unrolled: 1-line block ×66, first 2 shown]
.long 0xD0CC0030, 0x0001003E
.long 0xD1000020, 0x00C240F2
	;; [unrolled: 1-line block ×20, first 2 shown]
.long 0xBEC41E3A
.long 0x7E500304
	;; [unrolled: 1-line block ×9, first 2 shown]
.long 0x9246FF20, 0x00000074
.long 0x800C460C
.long 0x820D800D
.long 0xE07C1000, 0x8003280D
.long 0xE07C1010, 0x80032C0D
.long 0xD0CC0030, 0x0001003E
.long 0xD1000020, 0x00C240F2
.long 0xD1000021, 0x00C242F2
.long 0xD3B14030, 0x18026120
.long 0xD0CC0030, 0x0001003E
.long 0xD1000022, 0x00C244F2
.long 0xD1000023, 0x00C246F2
.long 0xD3B14032, 0x18026522
.long 0xD0CC0030, 0x0001003E
.long 0xD1000024, 0x00C248F2
.long 0xD1000025, 0x00C24AF2
.long 0xD3B14034, 0x18026924
.long 0xD0CC0030, 0x0001003E
.long 0xD1000026, 0x00C24CF2
.long 0xD1000027, 0x00C24EF2
.long 0xD3B14036, 0x18026D26
.long 0xD3B24004, 0x18026118
.long 0xD3B24006, 0x1802651A
.long 0xD3B24008, 0x1802691C
.long 0xD3B2400A, 0x18026D1E
.long 0xBEC41E3A
.long 0x7E600304
.long 0x7E620305
.long 0x7E640306
.long 0x7E660307
.long 0x7E680308
.long 0x7E6A0309
.long 0x7E6C030A
.long 0x7E6E030B
.long 0x8E468220
.long 0x800C460C
.long 0x820D800D
.long 0xE07C1000, 0x8003300D
.long 0xE07C1010, 0x8003340D
.long 0xD0CC0030, 0x0001003E
.long 0xD1000020, 0x00C240F2
.long 0xD1000021, 0x00C242F2
.long 0xD3B14038, 0x18027120
.long 0xD0CC0030, 0x0001003E
.long 0xD1000022, 0x00C244F2
.long 0xD1000023, 0x00C246F2
.long 0xD3B1403A, 0x18027522
.long 0xD0CC0030, 0x0001003E
.long 0xD1000024, 0x00C248F2
.long 0xD1000025, 0x00C24AF2
.long 0xD3B1403C, 0x18027924
.long 0xD0CC0030, 0x0001003E
.long 0xD1000026, 0x00C24CF2
.long 0xD1000027, 0x00C24EF2
.long 0xD3B1403E, 0x18027D26
.long 0xD3B24004, 0x18027118
.long 0xD3B24006, 0x1802751A
.long 0xD3B24008, 0x1802791C
.long 0xD3B2400A, 0x18027D1E
.long 0xBEC41E3A
.long 0x7E700304
.long 0x7E720305
.long 0x7E740306
.long 0x7E760307
.long 0x7E780308
.long 0x7E7A0309
.long 0x7E7C030A
.long 0x7E7E030B
.long 0x8E468220
	;; [unrolled: 34-line block ×3, first 2 shown]
.long 0x800C460C
.long 0x820D800D
.long 0xE07C1000, 0x8003400D
.long 0xE07C1010, 0x8003440D
.long 0xBF800000
.long 0x924602FF, 0x00000100
.long 0xD135000F, 0x00008D00
	;; [unrolled: 3-line block ×3, first 2 shown]
.long 0xE05C1000, 0x800F2010
.long 0xE05C1010, 0x800F2410
.long 0x7E5003A0
.long 0x7E5203A4
	;; [unrolled: 1-line block ×66, first 2 shown]
.long 0xD0CC0030, 0x0001003E
.long 0xD1000020, 0x00C240F2
	;; [unrolled: 1-line block ×20, first 2 shown]
.long 0xBEC41E3A
.long 0x7E500304
.long 0x7E520305
.long 0x7E540306
.long 0x7E560307
.long 0x7E580308
.long 0x7E5A0309
.long 0x7E5C030A
.long 0x7E5E030B
.long 0x9246FF20, 0x00000074
.long 0x800C460C
.long 0x820D800D
.long 0xE07C1000, 0x8003280D
.long 0xE07C1010, 0x80032C0D
.long 0xD0CC0030, 0x0001003E
.long 0xD1000020, 0x00C240F2
.long 0xD1000021, 0x00C242F2
.long 0xD3B14030, 0x18026120
.long 0xD0CC0030, 0x0001003E
.long 0xD1000022, 0x00C244F2
.long 0xD1000023, 0x00C246F2
.long 0xD3B14032, 0x18026522
.long 0xD0CC0030, 0x0001003E
.long 0xD1000024, 0x00C248F2
.long 0xD1000025, 0x00C24AF2
.long 0xD3B14034, 0x18026924
.long 0xD0CC0030, 0x0001003E
.long 0xD1000026, 0x00C24CF2
.long 0xD1000027, 0x00C24EF2
.long 0xD3B14036, 0x18026D26
.long 0xD3B24004, 0x18026118
.long 0xD3B24006, 0x1802651A
.long 0xD3B24008, 0x1802691C
.long 0xD3B2400A, 0x18026D1E
.long 0xBEC41E3A
.long 0x7E600304
.long 0x7E620305
.long 0x7E640306
.long 0x7E660307
.long 0x7E680308
.long 0x7E6A0309
.long 0x7E6C030A
.long 0x7E6E030B
.long 0x8E468220
.long 0x800C460C
.long 0x820D800D
.long 0xE07C1000, 0x8003300D
.long 0xE07C1010, 0x8003340D
.long 0xD0CC0030, 0x0001003E
.long 0xD1000020, 0x00C240F2
.long 0xD1000021, 0x00C242F2
.long 0xD3B14038, 0x18027120
.long 0xD0CC0030, 0x0001003E
.long 0xD1000022, 0x00C244F2
.long 0xD1000023, 0x00C246F2
.long 0xD3B1403A, 0x18027522
.long 0xD0CC0030, 0x0001003E
.long 0xD1000024, 0x00C248F2
.long 0xD1000025, 0x00C24AF2
.long 0xD3B1403C, 0x18027924
.long 0xD0CC0030, 0x0001003E
.long 0xD1000026, 0x00C24CF2
.long 0xD1000027, 0x00C24EF2
.long 0xD3B1403E, 0x18027D26
.long 0xD3B24004, 0x18027118
.long 0xD3B24006, 0x1802751A
.long 0xD3B24008, 0x1802791C
.long 0xD3B2400A, 0x18027D1E
.long 0xBEC41E3A
.long 0x7E700304
.long 0x7E720305
.long 0x7E740306
.long 0x7E760307
.long 0x7E780308
.long 0x7E7A0309
.long 0x7E7C030A
.long 0x7E7E030B
.long 0x8E468220
	;; [unrolled: 34-line block ×3, first 2 shown]
.long 0x800C460C
.long 0x820D800D
.long 0xE07C1000, 0x8003400D
.long 0xE07C1010, 0x8003440D
.long 0xBF800000
.long 0x924602FF, 0x00000100
.long 0xD135000F, 0x00008D00
	;; [unrolled: 3-line block ×3, first 2 shown]
.long 0xE05C1000, 0x800F2010
.long 0xE05C1010, 0x800F2410
.long 0x7E5003C0
.long 0x7E5203C4
.long 0x7E5403C8
.long 0x7E5603CC
.long 0x7E5803D0
.long 0x7E5A03D4
.long 0x7E5C03D8
.long 0x7E5E03DC
.long 0x7E6003C1
.long 0x7E6203C5
.long 0x7E6403C9
.long 0x7E6603CD
.long 0x7E6803D1
.long 0x7E6A03D5
.long 0x7E6C03D9
.long 0x7E6E03DD
.long 0x7E7003C2
.long 0x7E7203C6
.long 0x7E7403CA
.long 0x7E7603CE
.long 0x7E7803D2
.long 0x7E7A03D6
.long 0x7E7C03DA
.long 0x7E7E03DE
.long 0x7E8003C3
.long 0x7E8203C7
.long 0x7E8403CB
.long 0x7E8603CF
.long 0x7E8803D3
.long 0x7E8A03D7
.long 0x7E8C03DB
.long 0x7E8E03DF
.long 0xBF800001
.long 0x0A505028
.long 0x0A525228
.long 0x0A545428
.long 0x0A565628
.long 0x0A585828
.long 0x0A5A5A28
.long 0x0A5C5C28
.long 0x0A5E5E28
.long 0x0A606028
.long 0x0A626228
.long 0x0A646428
.long 0x0A666628
.long 0x0A686828
.long 0x0A6A6A28
.long 0x0A6C6C28
.long 0x0A6E6E28
.long 0x0A707028
.long 0x0A727228
.long 0x0A747428
.long 0x0A767628
.long 0x0A787828
.long 0x0A7A7A28
.long 0x0A7C7C28
.long 0x0A7E7E28
.long 0x0A808028
.long 0x0A828228
.long 0x0A848428
.long 0x0A868628
.long 0x0A888828
.long 0x0A8A8A28
.long 0x0A8C8C28
.long 0x0A8E8E28
.long 0xBF8C0000
.long 0xD0CC0030, 0x0001003E
.long 0xD1000020, 0x00C240F2
	;; [unrolled: 1-line block ×20, first 2 shown]
.long 0xBEC41E3A
.long 0x7E500304
	;; [unrolled: 1-line block ×9, first 2 shown]
.long 0x9246FF20, 0x00000074
.long 0x800C460C
.long 0x820D800D
.long 0xE07C1000, 0x8003280D
.long 0xE07C1010, 0x80032C0D
.long 0xD0CC0030, 0x0001003E
.long 0xD1000020, 0x00C240F2
.long 0xD1000021, 0x00C242F2
.long 0xD3B14030, 0x18026120
.long 0xD0CC0030, 0x0001003E
.long 0xD1000022, 0x00C244F2
.long 0xD1000023, 0x00C246F2
.long 0xD3B14032, 0x18026522
.long 0xD0CC0030, 0x0001003E
.long 0xD1000024, 0x00C248F2
.long 0xD1000025, 0x00C24AF2
.long 0xD3B14034, 0x18026924
.long 0xD0CC0030, 0x0001003E
.long 0xD1000026, 0x00C24CF2
.long 0xD1000027, 0x00C24EF2
.long 0xD3B14036, 0x18026D26
.long 0xD3B24004, 0x18026118
.long 0xD3B24006, 0x1802651A
.long 0xD3B24008, 0x1802691C
.long 0xD3B2400A, 0x18026D1E
.long 0xBEC41E3A
.long 0x7E600304
.long 0x7E620305
.long 0x7E640306
.long 0x7E660307
.long 0x7E680308
.long 0x7E6A0309
.long 0x7E6C030A
.long 0x7E6E030B
.long 0x8E468220
.long 0x800C460C
.long 0x820D800D
.long 0xE07C1000, 0x8003300D
.long 0xE07C1010, 0x8003340D
.long 0xD0CC0030, 0x0001003E
.long 0xD1000020, 0x00C240F2
.long 0xD1000021, 0x00C242F2
.long 0xD3B14038, 0x18027120
.long 0xD0CC0030, 0x0001003E
.long 0xD1000022, 0x00C244F2
.long 0xD1000023, 0x00C246F2
.long 0xD3B1403A, 0x18027522
.long 0xD0CC0030, 0x0001003E
.long 0xD1000024, 0x00C248F2
.long 0xD1000025, 0x00C24AF2
.long 0xD3B1403C, 0x18027924
.long 0xD0CC0030, 0x0001003E
.long 0xD1000026, 0x00C24CF2
.long 0xD1000027, 0x00C24EF2
.long 0xD3B1403E, 0x18027D26
.long 0xD3B24004, 0x18027118
.long 0xD3B24006, 0x1802751A
.long 0xD3B24008, 0x1802791C
.long 0xD3B2400A, 0x18027D1E
.long 0xBEC41E3A
.long 0x7E700304
.long 0x7E720305
.long 0x7E740306
.long 0x7E760307
.long 0x7E780308
.long 0x7E7A0309
.long 0x7E7C030A
.long 0x7E7E030B
.long 0x8E468220
	;; [unrolled: 34-line block ×3, first 2 shown]
.long 0x800C460C
.long 0x820D800D
.long 0xE07C1000, 0x8003400D
.long 0xE07C1010, 0x8003440D
.long 0xBF800000
.long 0x924602FF, 0x00000100
.long 0xD135000F, 0x00008D00
	;; [unrolled: 3-line block ×3, first 2 shown]
.long 0xE05C1000, 0x800F2010
.long 0xE05C1010, 0x800F2410
.long 0x7E5003E0
.long 0x7E5203E4
	;; [unrolled: 1-line block ×66, first 2 shown]
.long 0xD0CC0030, 0x0001003E
.long 0xD1000020, 0x00C240F2
	;; [unrolled: 1-line block ×20, first 2 shown]
.long 0xBEC41E3A
.long 0x7E500304
	;; [unrolled: 1-line block ×9, first 2 shown]
.long 0x9246FF20, 0x00000074
.long 0x800C460C
.long 0x820D800D
.long 0xE07C1000, 0x8003280D
.long 0xE07C1010, 0x80032C0D
.long 0xD0CC0030, 0x0001003E
.long 0xD1000020, 0x00C240F2
.long 0xD1000021, 0x00C242F2
.long 0xD3B14030, 0x18026120
.long 0xD0CC0030, 0x0001003E
.long 0xD1000022, 0x00C244F2
.long 0xD1000023, 0x00C246F2
.long 0xD3B14032, 0x18026522
.long 0xD0CC0030, 0x0001003E
.long 0xD1000024, 0x00C248F2
.long 0xD1000025, 0x00C24AF2
.long 0xD3B14034, 0x18026924
.long 0xD0CC0030, 0x0001003E
.long 0xD1000026, 0x00C24CF2
.long 0xD1000027, 0x00C24EF2
.long 0xD3B14036, 0x18026D26
.long 0xD3B24004, 0x18026118
.long 0xD3B24006, 0x1802651A
.long 0xD3B24008, 0x1802691C
.long 0xD3B2400A, 0x18026D1E
.long 0xBEC41E3A
.long 0x7E600304
.long 0x7E620305
.long 0x7E640306
.long 0x7E660307
.long 0x7E680308
.long 0x7E6A0309
.long 0x7E6C030A
.long 0x7E6E030B
.long 0x8E468220
.long 0x800C460C
.long 0x820D800D
.long 0xE07C1000, 0x8003300D
.long 0xE07C1010, 0x8003340D
.long 0xD0CC0030, 0x0001003E
.long 0xD1000020, 0x00C240F2
.long 0xD1000021, 0x00C242F2
.long 0xD3B14038, 0x18027120
.long 0xD0CC0030, 0x0001003E
.long 0xD1000022, 0x00C244F2
.long 0xD1000023, 0x00C246F2
.long 0xD3B1403A, 0x18027522
.long 0xD0CC0030, 0x0001003E
.long 0xD1000024, 0x00C248F2
.long 0xD1000025, 0x00C24AF2
.long 0xD3B1403C, 0x18027924
.long 0xD0CC0030, 0x0001003E
.long 0xD1000026, 0x00C24CF2
.long 0xD1000027, 0x00C24EF2
.long 0xD3B1403E, 0x18027D26
.long 0xD3B24004, 0x18027118
.long 0xD3B24006, 0x1802751A
.long 0xD3B24008, 0x1802791C
.long 0xD3B2400A, 0x18027D1E
.long 0xBEC41E3A
.long 0x7E700304
.long 0x7E720305
.long 0x7E740306
.long 0x7E760307
.long 0x7E780308
.long 0x7E7A0309
.long 0x7E7C030A
.long 0x7E7E030B
.long 0x8E468220
	;; [unrolled: 34-line block ×3, first 2 shown]
.long 0x800C460C
.long 0x820D800D
.long 0xE07C1000, 0x8003400D
.long 0xE07C1010, 0x8003440D
.long 0xBF800000
.long 0xBF824194
.long 0x7E8202FF, 0x80000000
.long 0xD0C90046, 0x00002900
	;; [unrolled: 1-line block ×3, first 2 shown]
.long 0x86CA4A46
.long 0x924602FF, 0x00000100
.long 0xD135000E, 0x00008D00
.long 0x241C1C82
.long 0xD100000E, 0x012A1D41
.long 0xBF8CC07F
.long 0xBF8A0000
.long 0xD9FE0000, 0x1000000E
.long 0xD9FE0010, 0x1400000E
.long 0x241E0082
.long 0xE05C1000, 0x800F180F
.long 0xE05C1010, 0x800F1C0F
	;; [unrolled: 1-line block ×9, first 2 shown]
.long 0x86CA4A46
.long 0x924602FF, 0x00000100
.long 0xD1350029, 0x00008D00
.long 0x24525282
.long 0xD1000029, 0x012A5341
.long 0x24540082
.long 0xD1FE0028, 0x020A0103
.long 0xD1000028, 0x012A5141
.long 0xD1196A01, 0x00010301
.long 0xD1340002, 0x00004502
.long 0xD1340003, 0x00004103
.long 0xD0C90046, 0x00002900
.long 0xD0C9004A, 0x00002B01
.long 0x86CA4A46
.long 0x924602FF, 0x00000100
.long 0xD135002C, 0x00008D00
.long 0x24585882
.long 0xD100002C, 0x012A5941
.long 0x245A0082
.long 0xD1FE002B, 0x020A0103
.long 0xD100002B, 0x012A5741
.long 0xD1196A01, 0x00010301
.long 0xD1340002, 0x00004502
.long 0xD1340003, 0x00004103
.long 0xD0C90046, 0x00002900
.long 0xD0C9004A, 0x00002B01
	;; [unrolled: 13-line block ×3, first 2 shown]
.long 0xD3D84025, 0x18000114
.long 0xD3D84026, 0x18000118
	;; [unrolled: 1-line block ×27, first 2 shown]
.long 0xBF800001
.long 0x0A404028
	;; [unrolled: 1-line block ×34, first 2 shown]
.long 0xD0CC0030, 0x0001003E
.long 0xD1000018, 0x00C230F2
.long 0xD1000019, 0x00C232F2
.long 0xD3B14020, 0x18024118
.long 0xD0CC0030, 0x0001003E
.long 0xD100001A, 0x00C234F2
.long 0xD100001B, 0x00C236F2
.long 0xD3B14022, 0x1802451A
.long 0xD0CC0030, 0x0001003E
.long 0xD100001C, 0x00C238F2
.long 0xD100001D, 0x00C23AF2
.long 0xD3B14024, 0x1802491C
.long 0xD0CC0030, 0x0001003E
.long 0xD100001E, 0x00C23CF2
.long 0xD100001F, 0x00C23EF2
.long 0xD3B14026, 0x18024D1E
.long 0xD3B24004, 0x18024110
.long 0xD3B24006, 0x18024512
.long 0xD3B24008, 0x18024914
.long 0xD3B2400A, 0x18024D16
.long 0xBEC41E3A
.long 0x7E400304
.long 0x7E420305
.long 0x7E440306
.long 0x7E460307
.long 0x7E480308
.long 0x7E4A0309
.long 0x7E4C030A
.long 0x7E4E030B
.long 0xE07C1000, 0x8003200D
.long 0xE07C1010, 0x8003240D
.long 0xD0CC0030, 0x0001003E
.long 0xD1000018, 0x00C230F2
.long 0xD1000019, 0x00C232F2
.long 0xD3B14030, 0x18026118
.long 0xD0CC0030, 0x0001003E
.long 0xD100001A, 0x00C234F2
.long 0xD100001B, 0x00C236F2
.long 0xD3B14032, 0x1802651A
.long 0xD0CC0030, 0x0001003E
.long 0xD100001C, 0x00C238F2
.long 0xD100001D, 0x00C23AF2
.long 0xD3B14034, 0x1802691C
.long 0xD0CC0030, 0x0001003E
.long 0xD100001E, 0x00C23CF2
.long 0xD100001F, 0x00C23EF2
.long 0xD3B14036, 0x18026D1E
.long 0xD3B24004, 0x18026110
.long 0xD3B24006, 0x18026512
.long 0xD3B24008, 0x18026914
.long 0xD3B2400A, 0x18026D16
.long 0xBEC41E3A
.long 0x7E600304
.long 0x7E620305
.long 0x7E640306
.long 0x7E660307
.long 0x7E680308
.long 0x7E6A0309
.long 0x7E6C030A
.long 0x7E6E030B
.long 0xE07C1000, 0x80033028
.long 0xE07C1010, 0x80033428
	;; [unrolled: 31-line block ×4, first 2 shown]
.long 0xBF800000
.long 0x7E8202FF, 0x80000000
.long 0xD1196A01, 0x00013B01
.long 0x92469D22
.long 0xD1340002, 0x00008D02
.long 0x92469D20
.long 0xD1340003, 0x00008D03
.long 0xD0C90046, 0x00002900
.long 0xD0C9004A, 0x00002B01
.long 0x86CA4A46
.long 0x924602FF, 0x00000100
.long 0xD135000E, 0x00008D00
.long 0x241C1C82
.long 0xD100000E, 0x012A1D41
.long 0xD9FE0000, 0x1000000E
	;; [unrolled: 1-line block ×3, first 2 shown]
.long 0x241E0082
.long 0xE05C1000, 0x800F180F
.long 0xE05C1010, 0x800F1C0F
	;; [unrolled: 1-line block ×9, first 2 shown]
.long 0x86CA4A46
.long 0x924602FF, 0x00000100
.long 0xD1350029, 0x00008D00
.long 0x24525282
.long 0xD1000029, 0x012A5341
.long 0x24540082
.long 0xD1FE0028, 0x020A0103
.long 0xD1000028, 0x012A5141
.long 0xD1196A01, 0x00010301
.long 0xD1340002, 0x00004502
.long 0xD1340003, 0x00004103
.long 0xD0C90046, 0x00002900
.long 0xD0C9004A, 0x00002B01
.long 0x86CA4A46
.long 0x924602FF, 0x00000100
.long 0xD135002C, 0x00008D00
.long 0x24585882
.long 0xD100002C, 0x012A5941
.long 0x245A0082
.long 0xD1FE002B, 0x020A0103
.long 0xD100002B, 0x012A5741
.long 0xD1196A01, 0x00010301
.long 0xD1340002, 0x00004502
.long 0xD1340003, 0x00004103
.long 0xD0C90046, 0x00002900
.long 0xD0C9004A, 0x00002B01
	;; [unrolled: 13-line block ×3, first 2 shown]
.long 0xD3D84025, 0x18000134
.long 0xD3D84026, 0x18000138
	;; [unrolled: 1-line block ×27, first 2 shown]
.long 0xBF800001
.long 0x0A404028
	;; [unrolled: 1-line block ×34, first 2 shown]
.long 0xD0CC0030, 0x0001003E
.long 0xD1000018, 0x00C230F2
.long 0xD1000019, 0x00C232F2
.long 0xD3B14020, 0x18024118
.long 0xD0CC0030, 0x0001003E
.long 0xD100001A, 0x00C234F2
.long 0xD100001B, 0x00C236F2
.long 0xD3B14022, 0x1802451A
.long 0xD0CC0030, 0x0001003E
.long 0xD100001C, 0x00C238F2
.long 0xD100001D, 0x00C23AF2
.long 0xD3B14024, 0x1802491C
.long 0xD0CC0030, 0x0001003E
.long 0xD100001E, 0x00C23CF2
.long 0xD100001F, 0x00C23EF2
.long 0xD3B14026, 0x18024D1E
.long 0xD3B24004, 0x18024110
.long 0xD3B24006, 0x18024512
.long 0xD3B24008, 0x18024914
.long 0xD3B2400A, 0x18024D16
.long 0xBEC41E3A
.long 0x7E400304
.long 0x7E420305
.long 0x7E440306
.long 0x7E460307
.long 0x7E480308
.long 0x7E4A0309
.long 0x7E4C030A
.long 0x7E4E030B
.long 0xE07C1000, 0x8003200D
.long 0xE07C1010, 0x8003240D
.long 0xD0CC0030, 0x0001003E
.long 0xD1000018, 0x00C230F2
.long 0xD1000019, 0x00C232F2
.long 0xD3B14030, 0x18026118
.long 0xD0CC0030, 0x0001003E
.long 0xD100001A, 0x00C234F2
.long 0xD100001B, 0x00C236F2
.long 0xD3B14032, 0x1802651A
.long 0xD0CC0030, 0x0001003E
.long 0xD100001C, 0x00C238F2
.long 0xD100001D, 0x00C23AF2
.long 0xD3B14034, 0x1802691C
.long 0xD0CC0030, 0x0001003E
.long 0xD100001E, 0x00C23CF2
.long 0xD100001F, 0x00C23EF2
.long 0xD3B14036, 0x18026D1E
.long 0xD3B24004, 0x18026110
.long 0xD3B24006, 0x18026512
.long 0xD3B24008, 0x18026914
.long 0xD3B2400A, 0x18026D16
.long 0xBEC41E3A
.long 0x7E600304
.long 0x7E620305
.long 0x7E640306
.long 0x7E660307
.long 0x7E680308
.long 0x7E6A0309
.long 0x7E6C030A
.long 0x7E6E030B
.long 0xE07C1000, 0x80033028
.long 0xE07C1010, 0x80033428
	;; [unrolled: 31-line block ×4, first 2 shown]
.long 0xBF800000
.long 0x7E8202FF, 0x80000000
.long 0xD1196A01, 0x00013B01
.long 0x92469D22
.long 0xD1340002, 0x00008D02
.long 0x92469D20
.long 0xD1340003, 0x00008D03
.long 0xD0C90046, 0x00002900
.long 0xD0C9004A, 0x00002B01
.long 0x86CA4A46
.long 0x924602FF, 0x00000100
.long 0xD135000E, 0x00008D00
.long 0x241C1C82
.long 0xD100000E, 0x012A1D41
.long 0xD9FE0000, 0x1000000E
	;; [unrolled: 1-line block ×3, first 2 shown]
.long 0x241E0082
.long 0xE05C1000, 0x800F180F
.long 0xE05C1010, 0x800F1C0F
	;; [unrolled: 1-line block ×9, first 2 shown]
.long 0x86CA4A46
.long 0x924602FF, 0x00000100
.long 0xD1350029, 0x00008D00
.long 0x24525282
.long 0xD1000029, 0x012A5341
.long 0x24540082
.long 0xD1FE0028, 0x020A0103
.long 0xD1000028, 0x012A5141
.long 0xD1196A01, 0x00010301
.long 0xD1340002, 0x00004502
.long 0xD1340003, 0x00004103
.long 0xD0C90046, 0x00002900
.long 0xD0C9004A, 0x00002B01
.long 0x86CA4A46
.long 0x924602FF, 0x00000100
.long 0xD135002C, 0x00008D00
.long 0x24585882
.long 0xD100002C, 0x012A5941
.long 0x245A0082
.long 0xD1FE002B, 0x020A0103
.long 0xD100002B, 0x012A5741
.long 0xD1196A01, 0x00010301
.long 0xD1340002, 0x00004502
.long 0xD1340003, 0x00004103
.long 0xD0C90046, 0x00002900
.long 0xD0C9004A, 0x00002B01
	;; [unrolled: 13-line block ×3, first 2 shown]
.long 0xD3D84025, 0x18000154
.long 0xD3D84026, 0x18000158
	;; [unrolled: 1-line block ×27, first 2 shown]
.long 0xBF800001
.long 0x0A404028
	;; [unrolled: 1-line block ×34, first 2 shown]
.long 0xD0CC0030, 0x0001003E
.long 0xD1000018, 0x00C230F2
.long 0xD1000019, 0x00C232F2
.long 0xD3B14020, 0x18024118
.long 0xD0CC0030, 0x0001003E
.long 0xD100001A, 0x00C234F2
.long 0xD100001B, 0x00C236F2
.long 0xD3B14022, 0x1802451A
.long 0xD0CC0030, 0x0001003E
.long 0xD100001C, 0x00C238F2
.long 0xD100001D, 0x00C23AF2
.long 0xD3B14024, 0x1802491C
.long 0xD0CC0030, 0x0001003E
.long 0xD100001E, 0x00C23CF2
.long 0xD100001F, 0x00C23EF2
.long 0xD3B14026, 0x18024D1E
.long 0xD3B24004, 0x18024110
.long 0xD3B24006, 0x18024512
.long 0xD3B24008, 0x18024914
.long 0xD3B2400A, 0x18024D16
.long 0xBEC41E3A
.long 0x7E400304
.long 0x7E420305
.long 0x7E440306
.long 0x7E460307
.long 0x7E480308
.long 0x7E4A0309
.long 0x7E4C030A
.long 0x7E4E030B
.long 0xE07C1000, 0x8003200D
.long 0xE07C1010, 0x8003240D
.long 0xD0CC0030, 0x0001003E
.long 0xD1000018, 0x00C230F2
.long 0xD1000019, 0x00C232F2
.long 0xD3B14030, 0x18026118
.long 0xD0CC0030, 0x0001003E
.long 0xD100001A, 0x00C234F2
.long 0xD100001B, 0x00C236F2
.long 0xD3B14032, 0x1802651A
.long 0xD0CC0030, 0x0001003E
.long 0xD100001C, 0x00C238F2
.long 0xD100001D, 0x00C23AF2
.long 0xD3B14034, 0x1802691C
.long 0xD0CC0030, 0x0001003E
.long 0xD100001E, 0x00C23CF2
.long 0xD100001F, 0x00C23EF2
.long 0xD3B14036, 0x18026D1E
.long 0xD3B24004, 0x18026110
.long 0xD3B24006, 0x18026512
.long 0xD3B24008, 0x18026914
.long 0xD3B2400A, 0x18026D16
.long 0xBEC41E3A
.long 0x7E600304
.long 0x7E620305
.long 0x7E640306
.long 0x7E660307
.long 0x7E680308
.long 0x7E6A0309
.long 0x7E6C030A
.long 0x7E6E030B
.long 0xE07C1000, 0x80033028
.long 0xE07C1010, 0x80033428
	;; [unrolled: 31-line block ×4, first 2 shown]
.long 0xBF800000
.long 0x7E8202FF, 0x80000000
.long 0xD1196A01, 0x00013B01
.long 0x92469D22
.long 0xD1340002, 0x00008D02
.long 0x92469D20
.long 0xD1340003, 0x00008D03
.long 0xD0C90046, 0x00002900
	;; [unrolled: 1-line block ×3, first 2 shown]
.long 0x86CA4A46
.long 0x924602FF, 0x00000100
.long 0xD135000E, 0x00008D00
.long 0x241C1C82
.long 0xD100000E, 0x012A1D41
.long 0xD9FE0000, 0x1000000E
	;; [unrolled: 1-line block ×3, first 2 shown]
.long 0x241E0082
.long 0xE05C1000, 0x800F180F
.long 0xE05C1010, 0x800F1C0F
	;; [unrolled: 1-line block ×9, first 2 shown]
.long 0x86CA4A46
.long 0x924602FF, 0x00000100
.long 0xD1350029, 0x00008D00
.long 0x24525282
.long 0xD1000029, 0x012A5341
.long 0x24540082
.long 0xD1FE0028, 0x020A0103
.long 0xD1000028, 0x012A5141
.long 0xD1196A01, 0x00010301
.long 0xD1340002, 0x00004502
.long 0xD1340003, 0x00004103
.long 0xD0C90046, 0x00002900
.long 0xD0C9004A, 0x00002B01
.long 0x86CA4A46
.long 0x924602FF, 0x00000100
.long 0xD135002C, 0x00008D00
.long 0x24585882
.long 0xD100002C, 0x012A5941
.long 0x245A0082
.long 0xD1FE002B, 0x020A0103
.long 0xD100002B, 0x012A5741
.long 0xD1196A01, 0x00010301
.long 0xD1340002, 0x00004502
.long 0xD1340003, 0x00004103
.long 0xD0C90046, 0x00002900
.long 0xD0C9004A, 0x00002B01
	;; [unrolled: 13-line block ×3, first 2 shown]
.long 0xD3D84025, 0x18000174
.long 0xD3D84026, 0x18000178
	;; [unrolled: 1-line block ×27, first 2 shown]
.long 0xBF800001
.long 0x0A404028
	;; [unrolled: 1-line block ×34, first 2 shown]
.long 0xD0CC0030, 0x0001003E
.long 0xD1000018, 0x00C230F2
.long 0xD1000019, 0x00C232F2
.long 0xD3B14020, 0x18024118
.long 0xD0CC0030, 0x0001003E
.long 0xD100001A, 0x00C234F2
.long 0xD100001B, 0x00C236F2
.long 0xD3B14022, 0x1802451A
.long 0xD0CC0030, 0x0001003E
.long 0xD100001C, 0x00C238F2
.long 0xD100001D, 0x00C23AF2
.long 0xD3B14024, 0x1802491C
.long 0xD0CC0030, 0x0001003E
.long 0xD100001E, 0x00C23CF2
.long 0xD100001F, 0x00C23EF2
.long 0xD3B14026, 0x18024D1E
.long 0xD3B24004, 0x18024110
.long 0xD3B24006, 0x18024512
.long 0xD3B24008, 0x18024914
.long 0xD3B2400A, 0x18024D16
.long 0xBEC41E3A
.long 0x7E400304
.long 0x7E420305
.long 0x7E440306
.long 0x7E460307
.long 0x7E480308
.long 0x7E4A0309
.long 0x7E4C030A
.long 0x7E4E030B
.long 0xE07C1000, 0x8003200D
.long 0xE07C1010, 0x8003240D
.long 0xD0CC0030, 0x0001003E
.long 0xD1000018, 0x00C230F2
.long 0xD1000019, 0x00C232F2
.long 0xD3B14030, 0x18026118
.long 0xD0CC0030, 0x0001003E
.long 0xD100001A, 0x00C234F2
.long 0xD100001B, 0x00C236F2
.long 0xD3B14032, 0x1802651A
.long 0xD0CC0030, 0x0001003E
.long 0xD100001C, 0x00C238F2
.long 0xD100001D, 0x00C23AF2
.long 0xD3B14034, 0x1802691C
.long 0xD0CC0030, 0x0001003E
.long 0xD100001E, 0x00C23CF2
.long 0xD100001F, 0x00C23EF2
.long 0xD3B14036, 0x18026D1E
.long 0xD3B24004, 0x18026110
.long 0xD3B24006, 0x18026512
.long 0xD3B24008, 0x18026914
.long 0xD3B2400A, 0x18026D16
.long 0xBEC41E3A
.long 0x7E600304
.long 0x7E620305
.long 0x7E640306
.long 0x7E660307
.long 0x7E680308
.long 0x7E6A0309
.long 0x7E6C030A
.long 0x7E6E030B
.long 0xE07C1000, 0x80033028
.long 0xE07C1010, 0x80033428
	;; [unrolled: 31-line block ×4, first 2 shown]
.long 0xBF800000
.long 0x7E8202FF, 0x80000000
.long 0xD1196A01, 0x00013B01
.long 0x92469D22
.long 0xD1340002, 0x00008D02
.long 0x92469D20
.long 0xD1340003, 0x00008D03
.long 0xD0C90046, 0x00002900
	;; [unrolled: 1-line block ×3, first 2 shown]
.long 0x86CA4A46
.long 0x924602FF, 0x00000100
.long 0xD135000E, 0x00008D00
.long 0x241C1C82
.long 0xD100000E, 0x012A1D41
.long 0xD9FE0000, 0x1000000E
	;; [unrolled: 1-line block ×3, first 2 shown]
.long 0x241E0082
.long 0xE05C1000, 0x800F180F
.long 0xE05C1010, 0x800F1C0F
	;; [unrolled: 1-line block ×9, first 2 shown]
.long 0x86CA4A46
.long 0x924602FF, 0x00000100
.long 0xD1350029, 0x00008D00
.long 0x24525282
.long 0xD1000029, 0x012A5341
.long 0x24540082
.long 0xD1FE0028, 0x020A0103
.long 0xD1000028, 0x012A5141
.long 0xD1196A01, 0x00010301
.long 0xD1340002, 0x00004502
.long 0xD1340003, 0x00004103
.long 0xD0C90046, 0x00002900
.long 0xD0C9004A, 0x00002B01
.long 0x86CA4A46
.long 0x924602FF, 0x00000100
.long 0xD135002C, 0x00008D00
.long 0x24585882
.long 0xD100002C, 0x012A5941
.long 0x245A0082
.long 0xD1FE002B, 0x020A0103
.long 0xD100002B, 0x012A5741
.long 0xD1196A01, 0x00010301
.long 0xD1340002, 0x00004502
.long 0xD1340003, 0x00004103
.long 0xD0C90046, 0x00002900
.long 0xD0C9004A, 0x00002B01
	;; [unrolled: 13-line block ×3, first 2 shown]
.long 0xD3D84025, 0x18000194
.long 0xD3D84026, 0x18000198
	;; [unrolled: 1-line block ×27, first 2 shown]
.long 0xBF800001
.long 0x0A404028
	;; [unrolled: 1-line block ×34, first 2 shown]
.long 0xD0CC0030, 0x0001003E
.long 0xD1000018, 0x00C230F2
.long 0xD1000019, 0x00C232F2
.long 0xD3B14020, 0x18024118
.long 0xD0CC0030, 0x0001003E
.long 0xD100001A, 0x00C234F2
.long 0xD100001B, 0x00C236F2
.long 0xD3B14022, 0x1802451A
.long 0xD0CC0030, 0x0001003E
.long 0xD100001C, 0x00C238F2
.long 0xD100001D, 0x00C23AF2
.long 0xD3B14024, 0x1802491C
.long 0xD0CC0030, 0x0001003E
.long 0xD100001E, 0x00C23CF2
.long 0xD100001F, 0x00C23EF2
.long 0xD3B14026, 0x18024D1E
.long 0xD3B24004, 0x18024110
.long 0xD3B24006, 0x18024512
.long 0xD3B24008, 0x18024914
.long 0xD3B2400A, 0x18024D16
.long 0xBEC41E3A
.long 0x7E400304
.long 0x7E420305
.long 0x7E440306
.long 0x7E460307
.long 0x7E480308
.long 0x7E4A0309
.long 0x7E4C030A
.long 0x7E4E030B
.long 0xE07C1000, 0x8003200D
.long 0xE07C1010, 0x8003240D
.long 0xD0CC0030, 0x0001003E
.long 0xD1000018, 0x00C230F2
.long 0xD1000019, 0x00C232F2
.long 0xD3B14030, 0x18026118
.long 0xD0CC0030, 0x0001003E
.long 0xD100001A, 0x00C234F2
.long 0xD100001B, 0x00C236F2
.long 0xD3B14032, 0x1802651A
.long 0xD0CC0030, 0x0001003E
.long 0xD100001C, 0x00C238F2
.long 0xD100001D, 0x00C23AF2
.long 0xD3B14034, 0x1802691C
.long 0xD0CC0030, 0x0001003E
.long 0xD100001E, 0x00C23CF2
.long 0xD100001F, 0x00C23EF2
.long 0xD3B14036, 0x18026D1E
.long 0xD3B24004, 0x18026110
.long 0xD3B24006, 0x18026512
.long 0xD3B24008, 0x18026914
.long 0xD3B2400A, 0x18026D16
.long 0xBEC41E3A
.long 0x7E600304
.long 0x7E620305
.long 0x7E640306
.long 0x7E660307
.long 0x7E680308
.long 0x7E6A0309
.long 0x7E6C030A
.long 0x7E6E030B
.long 0xE07C1000, 0x80033028
.long 0xE07C1010, 0x80033428
	;; [unrolled: 31-line block ×4, first 2 shown]
.long 0xBF800000
.long 0x7E8202FF, 0x80000000
.long 0xD1196A01, 0x00013B01
.long 0x92469D22
.long 0xD1340002, 0x00008D02
.long 0x92469D20
.long 0xD1340003, 0x00008D03
.long 0xD0C90046, 0x00002900
	;; [unrolled: 1-line block ×3, first 2 shown]
.long 0x86CA4A46
.long 0x924602FF, 0x00000100
.long 0xD135000E, 0x00008D00
.long 0x241C1C82
.long 0xD100000E, 0x012A1D41
.long 0xD9FE0000, 0x1000000E
	;; [unrolled: 1-line block ×3, first 2 shown]
.long 0x241E0082
.long 0xE05C1000, 0x800F180F
.long 0xE05C1010, 0x800F1C0F
	;; [unrolled: 1-line block ×9, first 2 shown]
.long 0x86CA4A46
.long 0x924602FF, 0x00000100
.long 0xD1350029, 0x00008D00
.long 0x24525282
.long 0xD1000029, 0x012A5341
.long 0x24540082
.long 0xD1FE0028, 0x020A0103
.long 0xD1000028, 0x012A5141
.long 0xD1196A01, 0x00010301
.long 0xD1340002, 0x00004502
.long 0xD1340003, 0x00004103
.long 0xD0C90046, 0x00002900
.long 0xD0C9004A, 0x00002B01
.long 0x86CA4A46
.long 0x924602FF, 0x00000100
.long 0xD135002C, 0x00008D00
.long 0x24585882
.long 0xD100002C, 0x012A5941
.long 0x245A0082
.long 0xD1FE002B, 0x020A0103
.long 0xD100002B, 0x012A5741
.long 0xD1196A01, 0x00010301
.long 0xD1340002, 0x00004502
.long 0xD1340003, 0x00004103
.long 0xD0C90046, 0x00002900
.long 0xD0C9004A, 0x00002B01
	;; [unrolled: 13-line block ×3, first 2 shown]
.long 0xD3D84025, 0x180001B4
.long 0xD3D84026, 0x180001B8
	;; [unrolled: 1-line block ×27, first 2 shown]
.long 0xBF800001
.long 0x0A404028
	;; [unrolled: 1-line block ×34, first 2 shown]
.long 0xD0CC0030, 0x0001003E
.long 0xD1000018, 0x00C230F2
.long 0xD1000019, 0x00C232F2
.long 0xD3B14020, 0x18024118
.long 0xD0CC0030, 0x0001003E
.long 0xD100001A, 0x00C234F2
.long 0xD100001B, 0x00C236F2
.long 0xD3B14022, 0x1802451A
.long 0xD0CC0030, 0x0001003E
.long 0xD100001C, 0x00C238F2
.long 0xD100001D, 0x00C23AF2
.long 0xD3B14024, 0x1802491C
.long 0xD0CC0030, 0x0001003E
.long 0xD100001E, 0x00C23CF2
.long 0xD100001F, 0x00C23EF2
.long 0xD3B14026, 0x18024D1E
.long 0xD3B24004, 0x18024110
.long 0xD3B24006, 0x18024512
.long 0xD3B24008, 0x18024914
.long 0xD3B2400A, 0x18024D16
.long 0xBEC41E3A
.long 0x7E400304
.long 0x7E420305
.long 0x7E440306
.long 0x7E460307
.long 0x7E480308
.long 0x7E4A0309
.long 0x7E4C030A
.long 0x7E4E030B
.long 0xE07C1000, 0x8003200D
.long 0xE07C1010, 0x8003240D
.long 0xD0CC0030, 0x0001003E
.long 0xD1000018, 0x00C230F2
.long 0xD1000019, 0x00C232F2
.long 0xD3B14030, 0x18026118
.long 0xD0CC0030, 0x0001003E
.long 0xD100001A, 0x00C234F2
.long 0xD100001B, 0x00C236F2
.long 0xD3B14032, 0x1802651A
.long 0xD0CC0030, 0x0001003E
.long 0xD100001C, 0x00C238F2
.long 0xD100001D, 0x00C23AF2
.long 0xD3B14034, 0x1802691C
.long 0xD0CC0030, 0x0001003E
.long 0xD100001E, 0x00C23CF2
.long 0xD100001F, 0x00C23EF2
.long 0xD3B14036, 0x18026D1E
.long 0xD3B24004, 0x18026110
.long 0xD3B24006, 0x18026512
.long 0xD3B24008, 0x18026914
.long 0xD3B2400A, 0x18026D16
.long 0xBEC41E3A
.long 0x7E600304
.long 0x7E620305
.long 0x7E640306
.long 0x7E660307
.long 0x7E680308
.long 0x7E6A0309
.long 0x7E6C030A
.long 0x7E6E030B
.long 0xE07C1000, 0x80033028
.long 0xE07C1010, 0x80033428
	;; [unrolled: 31-line block ×4, first 2 shown]
.long 0xBF800000
.long 0x7E8202FF, 0x80000000
.long 0xD1196A01, 0x00013B01
.long 0x92469D22
.long 0xD1340002, 0x00008D02
.long 0x92469D20
.long 0xD1340003, 0x00008D03
.long 0xD0C90046, 0x00002900
	;; [unrolled: 1-line block ×3, first 2 shown]
.long 0x86CA4A46
.long 0x924602FF, 0x00000100
.long 0xD135000E, 0x00008D00
.long 0x241C1C82
.long 0xD100000E, 0x012A1D41
.long 0xD9FE0000, 0x1000000E
	;; [unrolled: 1-line block ×3, first 2 shown]
.long 0x241E0082
.long 0xE05C1000, 0x800F180F
.long 0xE05C1010, 0x800F1C0F
	;; [unrolled: 1-line block ×9, first 2 shown]
.long 0x86CA4A46
.long 0x924602FF, 0x00000100
.long 0xD1350029, 0x00008D00
.long 0x24525282
.long 0xD1000029, 0x012A5341
.long 0x24540082
.long 0xD1FE0028, 0x020A0103
.long 0xD1000028, 0x012A5141
.long 0xD1196A01, 0x00010301
.long 0xD1340002, 0x00004502
.long 0xD1340003, 0x00004103
.long 0xD0C90046, 0x00002900
.long 0xD0C9004A, 0x00002B01
.long 0x86CA4A46
.long 0x924602FF, 0x00000100
.long 0xD135002C, 0x00008D00
.long 0x24585882
.long 0xD100002C, 0x012A5941
.long 0x245A0082
.long 0xD1FE002B, 0x020A0103
.long 0xD100002B, 0x012A5741
.long 0xD1196A01, 0x00010301
.long 0xD1340002, 0x00004502
.long 0xD1340003, 0x00004103
.long 0xD0C90046, 0x00002900
.long 0xD0C9004A, 0x00002B01
	;; [unrolled: 13-line block ×3, first 2 shown]
.long 0xD3D84025, 0x180001D4
.long 0xD3D84026, 0x180001D8
	;; [unrolled: 1-line block ×27, first 2 shown]
.long 0xBF800001
.long 0x0A404028
	;; [unrolled: 1-line block ×34, first 2 shown]
.long 0xD0CC0030, 0x0001003E
.long 0xD1000018, 0x00C230F2
.long 0xD1000019, 0x00C232F2
.long 0xD3B14020, 0x18024118
.long 0xD0CC0030, 0x0001003E
.long 0xD100001A, 0x00C234F2
.long 0xD100001B, 0x00C236F2
.long 0xD3B14022, 0x1802451A
.long 0xD0CC0030, 0x0001003E
.long 0xD100001C, 0x00C238F2
.long 0xD100001D, 0x00C23AF2
.long 0xD3B14024, 0x1802491C
.long 0xD0CC0030, 0x0001003E
.long 0xD100001E, 0x00C23CF2
.long 0xD100001F, 0x00C23EF2
.long 0xD3B14026, 0x18024D1E
.long 0xD3B24004, 0x18024110
.long 0xD3B24006, 0x18024512
.long 0xD3B24008, 0x18024914
.long 0xD3B2400A, 0x18024D16
.long 0xBEC41E3A
.long 0x7E400304
.long 0x7E420305
.long 0x7E440306
.long 0x7E460307
.long 0x7E480308
.long 0x7E4A0309
.long 0x7E4C030A
.long 0x7E4E030B
.long 0xE07C1000, 0x8003200D
.long 0xE07C1010, 0x8003240D
.long 0xD0CC0030, 0x0001003E
.long 0xD1000018, 0x00C230F2
.long 0xD1000019, 0x00C232F2
.long 0xD3B14030, 0x18026118
.long 0xD0CC0030, 0x0001003E
.long 0xD100001A, 0x00C234F2
.long 0xD100001B, 0x00C236F2
.long 0xD3B14032, 0x1802651A
.long 0xD0CC0030, 0x0001003E
.long 0xD100001C, 0x00C238F2
.long 0xD100001D, 0x00C23AF2
.long 0xD3B14034, 0x1802691C
.long 0xD0CC0030, 0x0001003E
.long 0xD100001E, 0x00C23CF2
.long 0xD100001F, 0x00C23EF2
.long 0xD3B14036, 0x18026D1E
.long 0xD3B24004, 0x18026110
.long 0xD3B24006, 0x18026512
.long 0xD3B24008, 0x18026914
.long 0xD3B2400A, 0x18026D16
.long 0xBEC41E3A
.long 0x7E600304
.long 0x7E620305
.long 0x7E640306
.long 0x7E660307
.long 0x7E680308
.long 0x7E6A0309
.long 0x7E6C030A
.long 0x7E6E030B
.long 0xE07C1000, 0x80033028
.long 0xE07C1010, 0x80033428
	;; [unrolled: 31-line block ×4, first 2 shown]
.long 0xBF800000
.long 0x7E8202FF, 0x80000000
.long 0xD1196A01, 0x00013B01
.long 0x92469D22
.long 0xD1340002, 0x00008D02
.long 0x92469D20
.long 0xD1340003, 0x00008D03
.long 0xD0C90046, 0x00002900
	;; [unrolled: 1-line block ×3, first 2 shown]
.long 0x86CA4A46
.long 0x924602FF, 0x00000100
.long 0xD135000E, 0x00008D00
.long 0x241C1C82
.long 0xD100000E, 0x012A1D41
.long 0xD9FE0000, 0x1000000E
	;; [unrolled: 1-line block ×3, first 2 shown]
.long 0x241E0082
.long 0xE05C1000, 0x800F180F
.long 0xE05C1010, 0x800F1C0F
	;; [unrolled: 1-line block ×9, first 2 shown]
.long 0x86CA4A46
.long 0x924602FF, 0x00000100
.long 0xD1350029, 0x00008D00
.long 0x24525282
.long 0xD1000029, 0x012A5341
.long 0x24540082
.long 0xD1FE0028, 0x020A0103
.long 0xD1000028, 0x012A5141
.long 0xD1196A01, 0x00010301
.long 0xD1340002, 0x00004502
.long 0xD1340003, 0x00004103
.long 0xD0C90046, 0x00002900
.long 0xD0C9004A, 0x00002B01
.long 0x86CA4A46
.long 0x924602FF, 0x00000100
.long 0xD135002C, 0x00008D00
.long 0x24585882
.long 0xD100002C, 0x012A5941
.long 0x245A0082
.long 0xD1FE002B, 0x020A0103
.long 0xD100002B, 0x012A5741
.long 0xD1196A01, 0x00010301
.long 0xD1340002, 0x00004502
.long 0xD1340003, 0x00004103
.long 0xD0C90046, 0x00002900
.long 0xD0C9004A, 0x00002B01
	;; [unrolled: 13-line block ×3, first 2 shown]
.long 0xD3D84025, 0x180001F4
.long 0xD3D84026, 0x180001F8
.long 0xD3D84027, 0x180001FC
.long 0xD3D84030, 0x180001E1
.long 0xD3D84031, 0x180001E5
.long 0xD3D84032, 0x180001E9
.long 0xD3D84033, 0x180001ED
.long 0xD3D84034, 0x180001F1
.long 0xD3D84035, 0x180001F5
.long 0xD3D84036, 0x180001F9
.long 0xD3D84037, 0x180001FD
.long 0xD3D84038, 0x180001E2
.long 0xD3D84039, 0x180001E6
.long 0xD3D8403A, 0x180001EA
.long 0xD3D8403B, 0x180001EE
.long 0xD3D8403C, 0x180001F2
.long 0xD3D8403D, 0x180001F6
.long 0xD3D8403E, 0x180001FA
.long 0xD3D8403F, 0x180001FE
.long 0xD3D84048, 0x180001E3
.long 0xD3D84049, 0x180001E7
.long 0xD3D8404A, 0x180001EB
.long 0xD3D8404B, 0x180001EF
.long 0xD3D8404C, 0x180001F3
.long 0xD3D8404D, 0x180001F7
.long 0xD3D8404E, 0x180001FB
.long 0xD3D8404F, 0x180001FF
.long 0xBF800001
.long 0x0A404028
	;; [unrolled: 1-line block ×34, first 2 shown]
.long 0xD0CC0030, 0x0001003E
.long 0xD1000018, 0x00C230F2
.long 0xD1000019, 0x00C232F2
.long 0xD3B14020, 0x18024118
.long 0xD0CC0030, 0x0001003E
.long 0xD100001A, 0x00C234F2
.long 0xD100001B, 0x00C236F2
.long 0xD3B14022, 0x1802451A
.long 0xD0CC0030, 0x0001003E
.long 0xD100001C, 0x00C238F2
.long 0xD100001D, 0x00C23AF2
.long 0xD3B14024, 0x1802491C
.long 0xD0CC0030, 0x0001003E
.long 0xD100001E, 0x00C23CF2
.long 0xD100001F, 0x00C23EF2
.long 0xD3B14026, 0x18024D1E
.long 0xD3B24004, 0x18024110
.long 0xD3B24006, 0x18024512
.long 0xD3B24008, 0x18024914
.long 0xD3B2400A, 0x18024D16
.long 0xBEC41E3A
.long 0x7E400304
.long 0x7E420305
.long 0x7E440306
.long 0x7E460307
.long 0x7E480308
.long 0x7E4A0309
.long 0x7E4C030A
.long 0x7E4E030B
.long 0xE07C1000, 0x8003200D
.long 0xE07C1010, 0x8003240D
.long 0xD0CC0030, 0x0001003E
.long 0xD1000018, 0x00C230F2
.long 0xD1000019, 0x00C232F2
.long 0xD3B14030, 0x18026118
.long 0xD0CC0030, 0x0001003E
.long 0xD100001A, 0x00C234F2
.long 0xD100001B, 0x00C236F2
.long 0xD3B14032, 0x1802651A
.long 0xD0CC0030, 0x0001003E
.long 0xD100001C, 0x00C238F2
.long 0xD100001D, 0x00C23AF2
.long 0xD3B14034, 0x1802691C
.long 0xD0CC0030, 0x0001003E
.long 0xD100001E, 0x00C23CF2
.long 0xD100001F, 0x00C23EF2
.long 0xD3B14036, 0x18026D1E
.long 0xD3B24004, 0x18026110
.long 0xD3B24006, 0x18026512
.long 0xD3B24008, 0x18026914
.long 0xD3B2400A, 0x18026D16
.long 0xBEC41E3A
.long 0x7E600304
.long 0x7E620305
.long 0x7E640306
.long 0x7E660307
.long 0x7E680308
.long 0x7E6A0309
.long 0x7E6C030A
.long 0x7E6E030B
.long 0xE07C1000, 0x80033028
.long 0xE07C1010, 0x80033428
	;; [unrolled: 31-line block ×4, first 2 shown]
.long 0xBF800000
.long 0x7E8202FF, 0x80000000
.long 0xD1196A01, 0x00013B01
.long 0x92469D22
.long 0xD1340002, 0x00008D02
.long 0x92469D20
.long 0xD1340003, 0x00008D03
.long 0xD0C90046, 0x00002900
	;; [unrolled: 1-line block ×3, first 2 shown]
.long 0x86CA4A46
.long 0x924602FF, 0x00000100
.long 0xD135000E, 0x00008D00
.long 0x241C1C82
.long 0xD100000E, 0x012A1D41
.long 0xD9FE0000, 0x1000000E
	;; [unrolled: 1-line block ×3, first 2 shown]
.long 0x241E0082
.long 0xE05C1000, 0x800F180F
.long 0xE05C1010, 0x800F1C0F
	;; [unrolled: 1-line block ×9, first 2 shown]
.long 0x86CA4A46
.long 0x924602FF, 0x00000100
.long 0xD1350029, 0x00008D00
.long 0x24525282
.long 0xD1000029, 0x012A5341
.long 0x24540082
.long 0xD1FE0028, 0x020A0103
.long 0xD1000028, 0x012A5141
	;; [unrolled: 1-line block ×7, first 2 shown]
.long 0x86CA4A46
.long 0x924602FF, 0x00000100
.long 0xD135002C, 0x00008D00
.long 0x24585882
.long 0xD100002C, 0x012A5941
.long 0x245A0082
.long 0xD1FE002B, 0x020A0103
.long 0xD100002B, 0x012A5741
	;; [unrolled: 1-line block ×7, first 2 shown]
.long 0x86CA4A46
.long 0x924602FF, 0x00000100
.long 0xD135002F, 0x00008D00
.long 0x245E5E82
.long 0xD100002F, 0x012A5F41
.long 0x24800082
.long 0xD1FE002E, 0x020A0103
.long 0xD100002E, 0x012A5D41
.long 0x7E400380
.long 0x7E420384
	;; [unrolled: 1-line block ×66, first 2 shown]
.long 0xD0CC0030, 0x0001003E
.long 0xD1000018, 0x00C230F2
.long 0xD1000019, 0x00C232F2
.long 0xD3B14020, 0x18024118
.long 0xD0CC0030, 0x0001003E
.long 0xD100001A, 0x00C234F2
.long 0xD100001B, 0x00C236F2
.long 0xD3B14022, 0x1802451A
.long 0xD0CC0030, 0x0001003E
.long 0xD100001C, 0x00C238F2
.long 0xD100001D, 0x00C23AF2
.long 0xD3B14024, 0x1802491C
.long 0xD0CC0030, 0x0001003E
.long 0xD100001E, 0x00C23CF2
.long 0xD100001F, 0x00C23EF2
.long 0xD3B14026, 0x18024D1E
.long 0xD3B24004, 0x18024110
.long 0xD3B24006, 0x18024512
.long 0xD3B24008, 0x18024914
.long 0xD3B2400A, 0x18024D16
.long 0xBEC41E3A
.long 0x7E400304
.long 0x7E420305
.long 0x7E440306
.long 0x7E460307
.long 0x7E480308
.long 0x7E4A0309
.long 0x7E4C030A
.long 0x7E4E030B
.long 0xE07C1000, 0x8003200D
.long 0xE07C1010, 0x8003240D
.long 0xD0CC0030, 0x0001003E
.long 0xD1000018, 0x00C230F2
.long 0xD1000019, 0x00C232F2
.long 0xD3B14030, 0x18026118
.long 0xD0CC0030, 0x0001003E
.long 0xD100001A, 0x00C234F2
.long 0xD100001B, 0x00C236F2
.long 0xD3B14032, 0x1802651A
.long 0xD0CC0030, 0x0001003E
.long 0xD100001C, 0x00C238F2
.long 0xD100001D, 0x00C23AF2
.long 0xD3B14034, 0x1802691C
.long 0xD0CC0030, 0x0001003E
.long 0xD100001E, 0x00C23CF2
.long 0xD100001F, 0x00C23EF2
.long 0xD3B14036, 0x18026D1E
.long 0xD3B24004, 0x18026110
.long 0xD3B24006, 0x18026512
.long 0xD3B24008, 0x18026914
.long 0xD3B2400A, 0x18026D16
.long 0xBEC41E3A
.long 0x7E600304
.long 0x7E620305
.long 0x7E640306
.long 0x7E660307
.long 0x7E680308
.long 0x7E6A0309
.long 0x7E6C030A
.long 0x7E6E030B
.long 0xE07C1000, 0x80033028
.long 0xE07C1010, 0x80033428
	;; [unrolled: 31-line block ×4, first 2 shown]
.long 0xBF800000
.long 0x7E8202FF, 0x80000000
.long 0xD1196A01, 0x00013B01
.long 0x92469D22
.long 0xD1340002, 0x00008D02
.long 0x92469D20
.long 0xD1340003, 0x00008D03
.long 0xD0C90046, 0x00002900
	;; [unrolled: 1-line block ×3, first 2 shown]
.long 0x86CA4A46
.long 0x924602FF, 0x00000100
.long 0xD135000E, 0x00008D00
.long 0x241C1C82
.long 0xD100000E, 0x012A1D41
.long 0xD9FE0000, 0x1000000E
	;; [unrolled: 1-line block ×3, first 2 shown]
.long 0x241E0082
.long 0xE05C1000, 0x800F180F
.long 0xE05C1010, 0x800F1C0F
	;; [unrolled: 1-line block ×9, first 2 shown]
.long 0x86CA4A46
.long 0x924602FF, 0x00000100
.long 0xD1350029, 0x00008D00
.long 0x24525282
.long 0xD1000029, 0x012A5341
.long 0x24540082
.long 0xD1FE0028, 0x020A0103
.long 0xD1000028, 0x012A5141
	;; [unrolled: 1-line block ×7, first 2 shown]
.long 0x86CA4A46
.long 0x924602FF, 0x00000100
.long 0xD135002C, 0x00008D00
.long 0x24585882
.long 0xD100002C, 0x012A5941
.long 0x245A0082
.long 0xD1FE002B, 0x020A0103
.long 0xD100002B, 0x012A5741
	;; [unrolled: 1-line block ×7, first 2 shown]
.long 0x86CA4A46
.long 0x924602FF, 0x00000100
.long 0xD135002F, 0x00008D00
.long 0x245E5E82
.long 0xD100002F, 0x012A5F41
.long 0x24800082
.long 0xD1FE002E, 0x020A0103
.long 0xD100002E, 0x012A5D41
.long 0x7E4003A0
.long 0x7E4203A4
	;; [unrolled: 1-line block ×66, first 2 shown]
.long 0xD0CC0030, 0x0001003E
.long 0xD1000018, 0x00C230F2
.long 0xD1000019, 0x00C232F2
.long 0xD3B14020, 0x18024118
.long 0xD0CC0030, 0x0001003E
.long 0xD100001A, 0x00C234F2
.long 0xD100001B, 0x00C236F2
.long 0xD3B14022, 0x1802451A
.long 0xD0CC0030, 0x0001003E
.long 0xD100001C, 0x00C238F2
.long 0xD100001D, 0x00C23AF2
.long 0xD3B14024, 0x1802491C
.long 0xD0CC0030, 0x0001003E
.long 0xD100001E, 0x00C23CF2
.long 0xD100001F, 0x00C23EF2
.long 0xD3B14026, 0x18024D1E
.long 0xD3B24004, 0x18024110
.long 0xD3B24006, 0x18024512
.long 0xD3B24008, 0x18024914
.long 0xD3B2400A, 0x18024D16
.long 0xBEC41E3A
.long 0x7E400304
.long 0x7E420305
.long 0x7E440306
.long 0x7E460307
.long 0x7E480308
.long 0x7E4A0309
.long 0x7E4C030A
.long 0x7E4E030B
.long 0xE07C1000, 0x8003200D
.long 0xE07C1010, 0x8003240D
.long 0xD0CC0030, 0x0001003E
.long 0xD1000018, 0x00C230F2
.long 0xD1000019, 0x00C232F2
.long 0xD3B14030, 0x18026118
.long 0xD0CC0030, 0x0001003E
.long 0xD100001A, 0x00C234F2
.long 0xD100001B, 0x00C236F2
.long 0xD3B14032, 0x1802651A
.long 0xD0CC0030, 0x0001003E
.long 0xD100001C, 0x00C238F2
.long 0xD100001D, 0x00C23AF2
.long 0xD3B14034, 0x1802691C
.long 0xD0CC0030, 0x0001003E
.long 0xD100001E, 0x00C23CF2
.long 0xD100001F, 0x00C23EF2
.long 0xD3B14036, 0x18026D1E
.long 0xD3B24004, 0x18026110
.long 0xD3B24006, 0x18026512
.long 0xD3B24008, 0x18026914
.long 0xD3B2400A, 0x18026D16
.long 0xBEC41E3A
.long 0x7E600304
.long 0x7E620305
.long 0x7E640306
.long 0x7E660307
.long 0x7E680308
.long 0x7E6A0309
.long 0x7E6C030A
.long 0x7E6E030B
.long 0xE07C1000, 0x80033028
.long 0xE07C1010, 0x80033428
	;; [unrolled: 31-line block ×4, first 2 shown]
.long 0xBF800000
.long 0x7E8202FF, 0x80000000
.long 0xD1196A01, 0x00013B01
.long 0x92469D22
.long 0xD1340002, 0x00008D02
.long 0x92469D20
.long 0xD1340003, 0x00008D03
.long 0xD0C90046, 0x00002900
	;; [unrolled: 1-line block ×3, first 2 shown]
.long 0x86CA4A46
.long 0x924602FF, 0x00000100
.long 0xD135000E, 0x00008D00
.long 0x241C1C82
.long 0xD100000E, 0x012A1D41
.long 0xD9FE0000, 0x1000000E
.long 0xD9FE0010, 0x1400000E
.long 0x241E0082
.long 0xE05C1000, 0x800F180F
.long 0xE05C1010, 0x800F1C0F
	;; [unrolled: 1-line block ×9, first 2 shown]
.long 0x86CA4A46
.long 0x924602FF, 0x00000100
.long 0xD1350029, 0x00008D00
.long 0x24525282
.long 0xD1000029, 0x012A5341
.long 0x24540082
.long 0xD1FE0028, 0x020A0103
.long 0xD1000028, 0x012A5141
	;; [unrolled: 1-line block ×7, first 2 shown]
.long 0x86CA4A46
.long 0x924602FF, 0x00000100
.long 0xD135002C, 0x00008D00
.long 0x24585882
.long 0xD100002C, 0x012A5941
.long 0x245A0082
.long 0xD1FE002B, 0x020A0103
.long 0xD100002B, 0x012A5741
	;; [unrolled: 1-line block ×7, first 2 shown]
.long 0x86CA4A46
.long 0x924602FF, 0x00000100
.long 0xD135002F, 0x00008D00
.long 0x245E5E82
.long 0xD100002F, 0x012A5F41
.long 0x24800082
.long 0xD1FE002E, 0x020A0103
.long 0xD100002E, 0x012A5D41
.long 0x7E4003C0
.long 0x7E4203C4
	;; [unrolled: 1-line block ×66, first 2 shown]
.long 0xD0CC0030, 0x0001003E
.long 0xD1000018, 0x00C230F2
.long 0xD1000019, 0x00C232F2
.long 0xD3B14020, 0x18024118
.long 0xD0CC0030, 0x0001003E
.long 0xD100001A, 0x00C234F2
.long 0xD100001B, 0x00C236F2
.long 0xD3B14022, 0x1802451A
.long 0xD0CC0030, 0x0001003E
.long 0xD100001C, 0x00C238F2
.long 0xD100001D, 0x00C23AF2
.long 0xD3B14024, 0x1802491C
.long 0xD0CC0030, 0x0001003E
.long 0xD100001E, 0x00C23CF2
.long 0xD100001F, 0x00C23EF2
.long 0xD3B14026, 0x18024D1E
.long 0xD3B24004, 0x18024110
.long 0xD3B24006, 0x18024512
.long 0xD3B24008, 0x18024914
.long 0xD3B2400A, 0x18024D16
.long 0xBEC41E3A
.long 0x7E400304
.long 0x7E420305
.long 0x7E440306
.long 0x7E460307
.long 0x7E480308
.long 0x7E4A0309
.long 0x7E4C030A
.long 0x7E4E030B
.long 0xE07C1000, 0x8003200D
.long 0xE07C1010, 0x8003240D
.long 0xD0CC0030, 0x0001003E
.long 0xD1000018, 0x00C230F2
.long 0xD1000019, 0x00C232F2
.long 0xD3B14030, 0x18026118
.long 0xD0CC0030, 0x0001003E
.long 0xD100001A, 0x00C234F2
.long 0xD100001B, 0x00C236F2
.long 0xD3B14032, 0x1802651A
.long 0xD0CC0030, 0x0001003E
.long 0xD100001C, 0x00C238F2
.long 0xD100001D, 0x00C23AF2
.long 0xD3B14034, 0x1802691C
.long 0xD0CC0030, 0x0001003E
.long 0xD100001E, 0x00C23CF2
.long 0xD100001F, 0x00C23EF2
.long 0xD3B14036, 0x18026D1E
.long 0xD3B24004, 0x18026110
.long 0xD3B24006, 0x18026512
.long 0xD3B24008, 0x18026914
.long 0xD3B2400A, 0x18026D16
.long 0xBEC41E3A
.long 0x7E600304
.long 0x7E620305
.long 0x7E640306
.long 0x7E660307
.long 0x7E680308
.long 0x7E6A0309
.long 0x7E6C030A
.long 0x7E6E030B
.long 0xE07C1000, 0x80033028
.long 0xE07C1010, 0x80033428
	;; [unrolled: 31-line block ×4, first 2 shown]
.long 0xBF800000
.long 0x7E8202FF, 0x80000000
.long 0xD1196A01, 0x00013B01
.long 0x92469D22
.long 0xD1340002, 0x00008D02
.long 0x92469D20
.long 0xD1340003, 0x00008D03
.long 0xD0C90046, 0x00002900
	;; [unrolled: 1-line block ×3, first 2 shown]
.long 0x86CA4A46
.long 0x924602FF, 0x00000100
.long 0xD135000E, 0x00008D00
.long 0x241C1C82
.long 0xD100000E, 0x012A1D41
.long 0xD9FE0000, 0x1000000E
	;; [unrolled: 1-line block ×3, first 2 shown]
.long 0x241E0082
.long 0xE05C1000, 0x800F180F
.long 0xE05C1010, 0x800F1C0F
	;; [unrolled: 1-line block ×9, first 2 shown]
.long 0x86CA4A46
.long 0x924602FF, 0x00000100
.long 0xD1350029, 0x00008D00
.long 0x24525282
.long 0xD1000029, 0x012A5341
.long 0x24540082
.long 0xD1FE0028, 0x020A0103
.long 0xD1000028, 0x012A5141
.long 0xD1196A01, 0x00010301
.long 0xD1340002, 0x00004502
.long 0xD1340003, 0x00004103
.long 0xD0C90046, 0x00002900
.long 0xD0C9004A, 0x00002B01
.long 0x86CA4A46
.long 0x924602FF, 0x00000100
.long 0xD135002C, 0x00008D00
.long 0x24585882
.long 0xD100002C, 0x012A5941
.long 0x245A0082
.long 0xD1FE002B, 0x020A0103
.long 0xD100002B, 0x012A5741
.long 0xD1196A01, 0x00010301
.long 0xD1340002, 0x00004502
.long 0xD1340003, 0x00004103
.long 0xD0C90046, 0x00002900
.long 0xD0C9004A, 0x00002B01
.long 0x86CA4A46
.long 0x924602FF, 0x00000100
.long 0xD135002F, 0x00008D00
.long 0x245E5E82
.long 0xD100002F, 0x012A5F41
.long 0x24800082
.long 0xD1FE002E, 0x020A0103
.long 0xD100002E, 0x012A5D41
.long 0x7E4003E0
.long 0x7E4203E4
	;; [unrolled: 1-line block ×66, first 2 shown]
.long 0xD0CC0030, 0x0001003E
.long 0xD1000018, 0x00C230F2
.long 0xD1000019, 0x00C232F2
.long 0xD3B14020, 0x18024118
.long 0xD0CC0030, 0x0001003E
.long 0xD100001A, 0x00C234F2
.long 0xD100001B, 0x00C236F2
.long 0xD3B14022, 0x1802451A
.long 0xD0CC0030, 0x0001003E
.long 0xD100001C, 0x00C238F2
.long 0xD100001D, 0x00C23AF2
.long 0xD3B14024, 0x1802491C
.long 0xD0CC0030, 0x0001003E
.long 0xD100001E, 0x00C23CF2
.long 0xD100001F, 0x00C23EF2
.long 0xD3B14026, 0x18024D1E
.long 0xD3B24004, 0x18024110
.long 0xD3B24006, 0x18024512
.long 0xD3B24008, 0x18024914
.long 0xD3B2400A, 0x18024D16
.long 0xBEC41E3A
.long 0x7E400304
.long 0x7E420305
.long 0x7E440306
.long 0x7E460307
.long 0x7E480308
.long 0x7E4A0309
.long 0x7E4C030A
.long 0x7E4E030B
.long 0xE07C1000, 0x8003200D
.long 0xE07C1010, 0x8003240D
.long 0xD0CC0030, 0x0001003E
.long 0xD1000018, 0x00C230F2
.long 0xD1000019, 0x00C232F2
.long 0xD3B14030, 0x18026118
.long 0xD0CC0030, 0x0001003E
.long 0xD100001A, 0x00C234F2
.long 0xD100001B, 0x00C236F2
.long 0xD3B14032, 0x1802651A
.long 0xD0CC0030, 0x0001003E
.long 0xD100001C, 0x00C238F2
.long 0xD100001D, 0x00C23AF2
.long 0xD3B14034, 0x1802691C
.long 0xD0CC0030, 0x0001003E
.long 0xD100001E, 0x00C23CF2
.long 0xD100001F, 0x00C23EF2
.long 0xD3B14036, 0x18026D1E
.long 0xD3B24004, 0x18026110
.long 0xD3B24006, 0x18026512
.long 0xD3B24008, 0x18026914
.long 0xD3B2400A, 0x18026D16
.long 0xBEC41E3A
.long 0x7E600304
.long 0x7E620305
.long 0x7E640306
.long 0x7E660307
.long 0x7E680308
.long 0x7E6A0309
.long 0x7E6C030A
.long 0x7E6E030B
.long 0xE07C1000, 0x80033028
.long 0xE07C1010, 0x80033428
	;; [unrolled: 31-line block ×4, first 2 shown]
.long 0xBF800000
.long 0xBF822EA5
.long 0x864614FF, 0x000000FF
.long 0x804709C1
.long 0xBF094702
	;; [unrolled: 1-line block ×6, first 2 shown]
.long 0x924815FF, 0x00000155
.long 0x8EC89048
.long 0x9247FF15, 0x00005556
.long 0x80484847
.long 0x82498049
	;; [unrolled: 1-line block ×4, first 2 shown]
.long 0x9248FF47, 0x00000180
.long 0x80C64815
.long 0x80470AC1
	;; [unrolled: 1-line block ×6, first 2 shown]
.long 0xD1FE000E, 0x020A0102
.long 0xE05C1000, 0x8004180E
	;; [unrolled: 1-line block ×5, first 2 shown]
.long 0x241E1E82
.long 0xBF8CC07F
	;; [unrolled: 1-line block ×3, first 2 shown]
.long 0xD9FE0000, 0x2000000F
.long 0xD9FE0010, 0x2400000F
.long 0x24200082
.long 0xE05C1000, 0x800F2810
.long 0xE05C1010, 0x800F2C10
.long 0x8E468222
.long 0x80104610
	;; [unrolled: 1-line block ×3, first 2 shown]
.long 0xE05C1000, 0x8004380E
.long 0xE05C1010, 0x80043C0E
	;; [unrolled: 1-line block ×19, first 2 shown]
.long 0xBF800001
.long 0x0A606028
	;; [unrolled: 1-line block ×18, first 2 shown]
.long 0xD0CC0030, 0x0001003E
.long 0xD1000028, 0x00C250F2
	;; [unrolled: 1-line block ×28, first 2 shown]
.long 0xBEC41E3A
.long 0x7E600304
	;; [unrolled: 1-line block ×9, first 2 shown]
.long 0xE07C1000, 0x8003300D
.long 0xE07C1010, 0x8003340D
.long 0xBF8C0F71
.long 0xD0CC0030, 0x0001003E
.long 0xD1000028, 0x00C250F2
	;; [unrolled: 1-line block ×28, first 2 shown]
.long 0xBEC41E3A
.long 0x7E800304
	;; [unrolled: 1-line block ×12, first 2 shown]
.long 0xE07C1000, 0x8003400D
.long 0xE07C1010, 0x8003440D
.long 0xBF800000
.long 0x8E468222
	;; [unrolled: 1-line block ×4, first 2 shown]
.long 0xE05C1000, 0x8004180E
.long 0xE05C1010, 0x80041C0E
	;; [unrolled: 1-line block ×4, first 2 shown]
.long 0x241E1E82
.long 0xD9FE0000, 0x2000000F
.long 0xD9FE0010, 0x2400000F
	;; [unrolled: 1-line block ×4, first 2 shown]
.long 0x8E468222
.long 0x80104610
	;; [unrolled: 1-line block ×3, first 2 shown]
.long 0xE05C1000, 0x8004380E
.long 0xE05C1010, 0x80043C0E
	;; [unrolled: 1-line block ×18, first 2 shown]
.long 0xBF800001
.long 0x0A606028
	;; [unrolled: 1-line block ×18, first 2 shown]
.long 0xD0CC0030, 0x0001003E
.long 0xD1000028, 0x00C250F2
	;; [unrolled: 1-line block ×28, first 2 shown]
.long 0xBEC41E3A
.long 0x7E600304
	;; [unrolled: 1-line block ×12, first 2 shown]
.long 0xE07C1000, 0x8003300D
.long 0xE07C1010, 0x8003340D
.long 0xBF8C0F71
.long 0xD0CC0030, 0x0001003E
.long 0xD1000028, 0x00C250F2
	;; [unrolled: 1-line block ×28, first 2 shown]
.long 0xBEC41E3A
.long 0x7E800304
	;; [unrolled: 1-line block ×12, first 2 shown]
.long 0xE07C1000, 0x8003400D
.long 0xE07C1010, 0x8003440D
.long 0xBF800000
.long 0x9246FF22, 0x00000074
.long 0x80104610
.long 0x82118011
.long 0xE05C1000, 0x8004180E
.long 0xE05C1010, 0x80041C0E
	;; [unrolled: 1-line block ×4, first 2 shown]
.long 0x241E1E82
.long 0xD9FE0000, 0x2000000F
.long 0xD9FE0010, 0x2400000F
	;; [unrolled: 1-line block ×4, first 2 shown]
.long 0x8E468222
.long 0x80104610
	;; [unrolled: 1-line block ×3, first 2 shown]
.long 0xE05C1000, 0x8004380E
.long 0xE05C1010, 0x80043C0E
.long 0xD3D84030, 0x18000120
.long 0xD3D84031, 0x18000124
.long 0xD3D84032, 0x18000128
.long 0xD3D84033, 0x1800012C
.long 0xD3D84034, 0x18000130
.long 0xD3D84035, 0x18000134
.long 0xD3D84036, 0x18000138
.long 0xD3D84037, 0x1800013C
.long 0xD3D84040, 0x18000121
.long 0xD3D84041, 0x18000125
.long 0xD3D84042, 0x18000129
.long 0xD3D84043, 0x1800012D
.long 0xD3D84044, 0x18000131
.long 0xD3D84045, 0x18000135
.long 0xD3D84046, 0x18000139
.long 0xD3D84047, 0x1800013D
.long 0xBF800001
.long 0x0A606028
	;; [unrolled: 1-line block ×18, first 2 shown]
.long 0xD0CC0030, 0x0001003E
.long 0xD1000028, 0x00C250F2
	;; [unrolled: 1-line block ×28, first 2 shown]
.long 0xBEC41E3A
.long 0x7E600304
	;; [unrolled: 1-line block ×9, first 2 shown]
.long 0x9246FF20, 0x00000074
.long 0x800C460C
.long 0x820D800D
.long 0xE07C1000, 0x8003300D
.long 0xE07C1010, 0x8003340D
.long 0xBF8C0F71
.long 0xD0CC0030, 0x0001003E
.long 0xD1000028, 0x00C250F2
	;; [unrolled: 1-line block ×28, first 2 shown]
.long 0xBEC41E3A
.long 0x7E800304
	;; [unrolled: 1-line block ×12, first 2 shown]
.long 0xE07C1000, 0x8003400D
.long 0xE07C1010, 0x8003440D
.long 0xBF800000
.long 0x8E468222
	;; [unrolled: 1-line block ×4, first 2 shown]
.long 0xE05C1000, 0x8004180E
.long 0xE05C1010, 0x80041C0E
	;; [unrolled: 1-line block ×4, first 2 shown]
.long 0x241E1E82
.long 0xD9FE0000, 0x2000000F
.long 0xD9FE0010, 0x2400000F
	;; [unrolled: 1-line block ×4, first 2 shown]
.long 0x8E468222
.long 0x80104610
	;; [unrolled: 1-line block ×3, first 2 shown]
.long 0xE05C1000, 0x8004380E
.long 0xE05C1010, 0x80043C0E
	;; [unrolled: 1-line block ×18, first 2 shown]
.long 0xBF800001
.long 0x0A606028
	;; [unrolled: 1-line block ×18, first 2 shown]
.long 0xD0CC0030, 0x0001003E
.long 0xD1000028, 0x00C250F2
	;; [unrolled: 1-line block ×28, first 2 shown]
.long 0xBEC41E3A
.long 0x7E600304
	;; [unrolled: 1-line block ×12, first 2 shown]
.long 0xE07C1000, 0x8003300D
.long 0xE07C1010, 0x8003340D
.long 0xBF8C0F71
.long 0xD0CC0030, 0x0001003E
.long 0xD1000028, 0x00C250F2
	;; [unrolled: 1-line block ×28, first 2 shown]
.long 0xBEC41E3A
.long 0x7E800304
	;; [unrolled: 1-line block ×12, first 2 shown]
.long 0xE07C1000, 0x8003400D
.long 0xE07C1010, 0x8003440D
.long 0xBF800000
.long 0x9246FF22, 0x00000074
.long 0x80104610
.long 0x82118011
.long 0xE05C1000, 0x8004180E
.long 0xE05C1010, 0x80041C0E
.long 0x924602FF, 0x00000100
.long 0xD135000F, 0x00008D00
.long 0x241E1E82
.long 0xD9FE0000, 0x2000000F
.long 0xD9FE0010, 0x2400000F
	;; [unrolled: 1-line block ×4, first 2 shown]
.long 0x8E468222
.long 0x80104610
	;; [unrolled: 1-line block ×3, first 2 shown]
.long 0xE05C1000, 0x8004380E
.long 0xE05C1010, 0x80043C0E
	;; [unrolled: 1-line block ×18, first 2 shown]
.long 0xBF800001
.long 0x0A606028
	;; [unrolled: 1-line block ×18, first 2 shown]
.long 0xD0CC0030, 0x0001003E
.long 0xD1000028, 0x00C250F2
	;; [unrolled: 1-line block ×28, first 2 shown]
.long 0xBEC41E3A
.long 0x7E600304
	;; [unrolled: 1-line block ×9, first 2 shown]
.long 0x9246FF20, 0x00000074
.long 0x800C460C
.long 0x820D800D
.long 0xE07C1000, 0x8003300D
.long 0xE07C1010, 0x8003340D
.long 0xBF8C0F71
.long 0xD0CC0030, 0x0001003E
.long 0xD1000028, 0x00C250F2
	;; [unrolled: 1-line block ×28, first 2 shown]
.long 0xBEC41E3A
.long 0x7E800304
	;; [unrolled: 1-line block ×12, first 2 shown]
.long 0xE07C1000, 0x8003400D
.long 0xE07C1010, 0x8003440D
.long 0xBF800000
.long 0x8E468222
	;; [unrolled: 1-line block ×4, first 2 shown]
.long 0xE05C1000, 0x8004180E
.long 0xE05C1010, 0x80041C0E
	;; [unrolled: 1-line block ×4, first 2 shown]
.long 0x241E1E82
.long 0xD9FE0000, 0x2000000F
.long 0xD9FE0010, 0x2400000F
.long 0xE05C1000, 0x800F2810
.long 0xE05C1010, 0x800F2C10
.long 0x8E468222
.long 0x80104610
	;; [unrolled: 1-line block ×3, first 2 shown]
.long 0xE05C1000, 0x8004380E
.long 0xE05C1010, 0x80043C0E
	;; [unrolled: 1-line block ×18, first 2 shown]
.long 0xBF800001
.long 0x0A606028
	;; [unrolled: 1-line block ×18, first 2 shown]
.long 0xD0CC0030, 0x0001003E
.long 0xD1000028, 0x00C250F2
	;; [unrolled: 1-line block ×28, first 2 shown]
.long 0xBEC41E3A
.long 0x7E600304
	;; [unrolled: 1-line block ×12, first 2 shown]
.long 0xE07C1000, 0x8003300D
.long 0xE07C1010, 0x8003340D
.long 0xBF8C0F71
.long 0xD0CC0030, 0x0001003E
.long 0xD1000028, 0x00C250F2
	;; [unrolled: 1-line block ×28, first 2 shown]
.long 0xBEC41E3A
.long 0x7E800304
	;; [unrolled: 1-line block ×12, first 2 shown]
.long 0xE07C1000, 0x8003400D
.long 0xE07C1010, 0x8003440D
.long 0xBF800000
.long 0x9246FF22, 0x00000074
.long 0x80104610
.long 0x82118011
.long 0xE05C1000, 0x8004180E
.long 0xE05C1010, 0x80041C0E
	;; [unrolled: 1-line block ×4, first 2 shown]
.long 0x241E1E82
.long 0xD9FE0000, 0x2000000F
.long 0xD9FE0010, 0x2400000F
	;; [unrolled: 1-line block ×4, first 2 shown]
.long 0x8E468222
.long 0x80104610
	;; [unrolled: 1-line block ×3, first 2 shown]
.long 0xE05C1000, 0x8004380E
.long 0xE05C1010, 0x80043C0E
.long 0xD3D84030, 0x18000160
.long 0xD3D84031, 0x18000164
.long 0xD3D84032, 0x18000168
.long 0xD3D84033, 0x1800016C
.long 0xD3D84034, 0x18000170
.long 0xD3D84035, 0x18000174
.long 0xD3D84036, 0x18000178
.long 0xD3D84037, 0x1800017C
.long 0xD3D84040, 0x18000161
.long 0xD3D84041, 0x18000165
.long 0xD3D84042, 0x18000169
.long 0xD3D84043, 0x1800016D
.long 0xD3D84044, 0x18000171
.long 0xD3D84045, 0x18000175
.long 0xD3D84046, 0x18000179
.long 0xD3D84047, 0x1800017D
.long 0xBF800001
.long 0x0A606028
	;; [unrolled: 1-line block ×18, first 2 shown]
.long 0xD0CC0030, 0x0001003E
.long 0xD1000028, 0x00C250F2
	;; [unrolled: 1-line block ×28, first 2 shown]
.long 0xBEC41E3A
.long 0x7E600304
	;; [unrolled: 1-line block ×9, first 2 shown]
.long 0x9246FF20, 0x00000074
.long 0x800C460C
.long 0x820D800D
.long 0xE07C1000, 0x8003300D
.long 0xE07C1010, 0x8003340D
.long 0xBF8C0F71
.long 0xD0CC0030, 0x0001003E
.long 0xD1000028, 0x00C250F2
	;; [unrolled: 1-line block ×28, first 2 shown]
.long 0xBEC41E3A
.long 0x7E800304
.long 0x7E820305
.long 0x7E840306
.long 0x7E860307
.long 0x7E880308
.long 0x7E8A0309
.long 0x7E8C030A
.long 0x7E8E030B
.long 0x8E468220
.long 0x800C460C
.long 0x820D800D
.long 0xE07C1000, 0x8003400D
.long 0xE07C1010, 0x8003440D
.long 0xBF800000
.long 0x8E468222
.long 0x80104610
.long 0x82118011
.long 0xE05C1000, 0x8004180E
.long 0xE05C1010, 0x80041C0E
.long 0x924602FF, 0x00000100
.long 0xD135000F, 0x00008D00
.long 0x241E1E82
.long 0xD9FE0000, 0x2000000F
.long 0xD9FE0010, 0x2400000F
.long 0xE05C1000, 0x800F2810
.long 0xE05C1010, 0x800F2C10
.long 0x8E468222
.long 0x80104610
	;; [unrolled: 1-line block ×3, first 2 shown]
.long 0xE05C1000, 0x8004380E
.long 0xE05C1010, 0x80043C0E
	;; [unrolled: 1-line block ×18, first 2 shown]
.long 0xBF800001
.long 0x0A606028
	;; [unrolled: 1-line block ×18, first 2 shown]
.long 0xD0CC0030, 0x0001003E
.long 0xD1000028, 0x00C250F2
.long 0xD1000029, 0x00C252F2
.long 0xD3B14030, 0x18026128
.long 0xD0CC0030, 0x0001003E
.long 0xD100002A, 0x00C254F2
.long 0xD100002B, 0x00C256F2
.long 0xD3B14032, 0x1802652A
.long 0xD0CC0030, 0x0001003E
.long 0xD100002C, 0x00C258F2
.long 0xD100002D, 0x00C25AF2
.long 0xD3B14034, 0x1802692C
.long 0xD0CC0030, 0x0001003E
.long 0xD100002E, 0x00C25CF2
.long 0xD100002F, 0x00C25EF2
.long 0xD3B14036, 0x18026D2E
.long 0xD13B0030, 0x00005318
.long 0xD13B0031, 0x00005319
.long 0xD13B0032, 0x0000531A
.long 0xD13B0033, 0x0000531B
.long 0xD13B0034, 0x0000531C
.long 0xD13B0035, 0x0000531D
.long 0xD13B0036, 0x0000531E
.long 0xD13B0037, 0x0000531F
.long 0xD3B24004, 0x18026120
.long 0xD3B24006, 0x18026522
.long 0xD3B24008, 0x18026924
.long 0xD3B2400A, 0x18026D26
.long 0xBEC41E3A
.long 0x7E600304
	;; [unrolled: 1-line block ×12, first 2 shown]
.long 0xE07C1000, 0x8003300D
.long 0xE07C1010, 0x8003340D
.long 0xBF8C0F71
.long 0xD0CC0030, 0x0001003E
.long 0xD1000028, 0x00C250F2
	;; [unrolled: 1-line block ×28, first 2 shown]
.long 0xBEC41E3A
.long 0x7E800304
.long 0x7E820305
.long 0x7E840306
.long 0x7E860307
.long 0x7E880308
.long 0x7E8A0309
.long 0x7E8C030A
.long 0x7E8E030B
.long 0x8E468220
.long 0x800C460C
.long 0x820D800D
.long 0xE07C1000, 0x8003400D
.long 0xE07C1010, 0x8003440D
.long 0xBF800000
.long 0x9246FF22, 0x00000074
.long 0x80104610
.long 0x82118011
.long 0xE05C1000, 0x8004180E
.long 0xE05C1010, 0x80041C0E
	;; [unrolled: 1-line block ×4, first 2 shown]
.long 0x241E1E82
.long 0xD9FE0000, 0x2000000F
.long 0xD9FE0010, 0x2400000F
	;; [unrolled: 1-line block ×4, first 2 shown]
.long 0x8E468222
.long 0x80104610
	;; [unrolled: 1-line block ×3, first 2 shown]
.long 0xE05C1000, 0x8004380E
.long 0xE05C1010, 0x80043C0E
	;; [unrolled: 1-line block ×18, first 2 shown]
.long 0xBF800001
.long 0x0A606028
	;; [unrolled: 1-line block ×18, first 2 shown]
.long 0xD0CC0030, 0x0001003E
.long 0xD1000028, 0x00C250F2
	;; [unrolled: 1-line block ×28, first 2 shown]
.long 0xBEC41E3A
.long 0x7E600304
	;; [unrolled: 1-line block ×9, first 2 shown]
.long 0x9246FF20, 0x00000074
.long 0x800C460C
.long 0x820D800D
.long 0xE07C1000, 0x8003300D
.long 0xE07C1010, 0x8003340D
.long 0xBF8C0F71
.long 0xD0CC0030, 0x0001003E
.long 0xD1000028, 0x00C250F2
.long 0xD1000029, 0x00C252F2
.long 0xD3B14040, 0x18028128
.long 0xD0CC0030, 0x0001003E
.long 0xD100002A, 0x00C254F2
.long 0xD100002B, 0x00C256F2
.long 0xD3B14042, 0x1802852A
.long 0xD0CC0030, 0x0001003E
.long 0xD100002C, 0x00C258F2
.long 0xD100002D, 0x00C25AF2
.long 0xD3B14044, 0x1802892C
.long 0xD0CC0030, 0x0001003E
.long 0xD100002E, 0x00C25CF2
.long 0xD100002F, 0x00C25EF2
.long 0xD3B14046, 0x18028D2E
.long 0xD13B0040, 0x00005338
.long 0xD13B0041, 0x00005339
.long 0xD13B0042, 0x0000533A
.long 0xD13B0043, 0x0000533B
.long 0xD13B0044, 0x0000533C
.long 0xD13B0045, 0x0000533D
.long 0xD13B0046, 0x0000533E
.long 0xD13B0047, 0x0000533F
.long 0xD3B24004, 0x18028120
.long 0xD3B24006, 0x18028522
.long 0xD3B24008, 0x18028924
.long 0xD3B2400A, 0x18028D26
.long 0xBEC41E3A
.long 0x7E800304
.long 0x7E820305
.long 0x7E840306
.long 0x7E860307
.long 0x7E880308
.long 0x7E8A0309
.long 0x7E8C030A
.long 0x7E8E030B
.long 0x8E468220
.long 0x800C460C
.long 0x820D800D
.long 0xE07C1000, 0x8003400D
.long 0xE07C1010, 0x8003440D
.long 0xBF800000
.long 0x8E468222
	;; [unrolled: 1-line block ×4, first 2 shown]
.long 0xE05C1000, 0x8004180E
.long 0xE05C1010, 0x80041C0E
	;; [unrolled: 1-line block ×4, first 2 shown]
.long 0x241E1E82
.long 0xD9FE0000, 0x2000000F
.long 0xD9FE0010, 0x2400000F
	;; [unrolled: 1-line block ×4, first 2 shown]
.long 0x8E468222
.long 0x80104610
	;; [unrolled: 1-line block ×3, first 2 shown]
.long 0xE05C1000, 0x8004380E
.long 0xE05C1010, 0x80043C0E
	;; [unrolled: 1-line block ×18, first 2 shown]
.long 0xBF800001
.long 0x0A606028
	;; [unrolled: 1-line block ×18, first 2 shown]
.long 0xD0CC0030, 0x0001003E
.long 0xD1000028, 0x00C250F2
	;; [unrolled: 1-line block ×28, first 2 shown]
.long 0xBEC41E3A
.long 0x7E600304
	;; [unrolled: 1-line block ×12, first 2 shown]
.long 0xE07C1000, 0x8003300D
.long 0xE07C1010, 0x8003340D
.long 0xBF8C0F71
.long 0xD0CC0030, 0x0001003E
.long 0xD1000028, 0x00C250F2
	;; [unrolled: 1-line block ×28, first 2 shown]
.long 0xBEC41E3A
.long 0x7E800304
	;; [unrolled: 1-line block ×12, first 2 shown]
.long 0xE07C1000, 0x8003400D
.long 0xE07C1010, 0x8003440D
.long 0xBF800000
.long 0x9246FF22, 0x00000074
.long 0x80104610
.long 0x82118011
.long 0xE05C1000, 0x8004180E
.long 0xE05C1010, 0x80041C0E
	;; [unrolled: 1-line block ×4, first 2 shown]
.long 0x241E1E82
.long 0xD9FE0000, 0x2000000F
.long 0xD9FE0010, 0x2400000F
	;; [unrolled: 1-line block ×4, first 2 shown]
.long 0x8E468222
.long 0x80104610
	;; [unrolled: 1-line block ×3, first 2 shown]
.long 0xE05C1000, 0x8004380E
.long 0xE05C1010, 0x80043C0E
	;; [unrolled: 1-line block ×18, first 2 shown]
.long 0xBF800001
.long 0x0A606028
	;; [unrolled: 1-line block ×18, first 2 shown]
.long 0xD0CC0030, 0x0001003E
.long 0xD1000028, 0x00C250F2
	;; [unrolled: 1-line block ×28, first 2 shown]
.long 0xBEC41E3A
.long 0x7E600304
	;; [unrolled: 1-line block ×9, first 2 shown]
.long 0x9246FF20, 0x00000074
.long 0x800C460C
.long 0x820D800D
.long 0xE07C1000, 0x8003300D
.long 0xE07C1010, 0x8003340D
.long 0xBF8C0F71
.long 0xD0CC0030, 0x0001003E
.long 0xD1000028, 0x00C250F2
	;; [unrolled: 1-line block ×28, first 2 shown]
.long 0xBEC41E3A
.long 0x7E800304
	;; [unrolled: 1-line block ×12, first 2 shown]
.long 0xE07C1000, 0x8003400D
.long 0xE07C1010, 0x8003440D
.long 0xBF800000
.long 0x8E468222
	;; [unrolled: 1-line block ×4, first 2 shown]
.long 0xE05C1000, 0x8004180E
.long 0xE05C1010, 0x80041C0E
	;; [unrolled: 1-line block ×4, first 2 shown]
.long 0x241E1E82
.long 0xD9FE0000, 0x2000000F
.long 0xD9FE0010, 0x2400000F
	;; [unrolled: 1-line block ×4, first 2 shown]
.long 0x8E468222
.long 0x80104610
	;; [unrolled: 1-line block ×3, first 2 shown]
.long 0xE05C1000, 0x8004380E
.long 0xE05C1010, 0x80043C0E
	;; [unrolled: 1-line block ×18, first 2 shown]
.long 0xBF800001
.long 0x0A606028
.long 0x0A626228
.long 0x0A646428
.long 0x0A666628
.long 0x0A686828
.long 0x0A6A6A28
.long 0x0A6C6C28
.long 0x0A6E6E28
.long 0x0A808028
.long 0x0A828228
.long 0x0A848428
.long 0x0A868628
.long 0x0A888828
.long 0x0A8A8A28
.long 0x0A8C8C28
.long 0x0A8E8E28
.long 0xBF8C0072
.long 0xD0CC0030, 0x0001003E
.long 0xD1000028, 0x00C250F2
	;; [unrolled: 1-line block ×28, first 2 shown]
.long 0xBEC41E3A
.long 0x7E600304
	;; [unrolled: 1-line block ×12, first 2 shown]
.long 0xE07C1000, 0x8003300D
.long 0xE07C1010, 0x8003340D
.long 0xBF8C0F71
.long 0xD0CC0030, 0x0001003E
.long 0xD1000028, 0x00C250F2
.long 0xD1000029, 0x00C252F2
.long 0xD3B14040, 0x18028128
.long 0xD0CC0030, 0x0001003E
.long 0xD100002A, 0x00C254F2
.long 0xD100002B, 0x00C256F2
.long 0xD3B14042, 0x1802852A
.long 0xD0CC0030, 0x0001003E
.long 0xD100002C, 0x00C258F2
.long 0xD100002D, 0x00C25AF2
.long 0xD3B14044, 0x1802892C
.long 0xD0CC0030, 0x0001003E
.long 0xD100002E, 0x00C25CF2
.long 0xD100002F, 0x00C25EF2
.long 0xD3B14046, 0x18028D2E
.long 0xD13B0040, 0x00005338
.long 0xD13B0041, 0x00005339
.long 0xD13B0042, 0x0000533A
.long 0xD13B0043, 0x0000533B
.long 0xD13B0044, 0x0000533C
.long 0xD13B0045, 0x0000533D
.long 0xD13B0046, 0x0000533E
.long 0xD13B0047, 0x0000533F
.long 0xD3B24004, 0x18028120
.long 0xD3B24006, 0x18028522
.long 0xD3B24008, 0x18028924
.long 0xD3B2400A, 0x18028D26
.long 0xBEC41E3A
.long 0x7E800304
	;; [unrolled: 1-line block ×12, first 2 shown]
.long 0xE07C1000, 0x8003400D
.long 0xE07C1010, 0x8003440D
.long 0xBF800000
.long 0x9246FF22, 0x00000074
.long 0x80104610
.long 0x82118011
.long 0xE05C1000, 0x8004180E
.long 0xE05C1010, 0x80041C0E
	;; [unrolled: 1-line block ×4, first 2 shown]
.long 0x241E1E82
.long 0xD9FE0000, 0x2000000F
.long 0xD9FE0010, 0x2400000F
.long 0xE05C1000, 0x800F2810
.long 0xE05C1010, 0x800F2C10
.long 0x8E468222
.long 0x80104610
	;; [unrolled: 1-line block ×3, first 2 shown]
.long 0xE05C1000, 0x8004380E
.long 0xE05C1010, 0x80043C0E
	;; [unrolled: 1-line block ×18, first 2 shown]
.long 0xBF800001
.long 0x0A606028
	;; [unrolled: 1-line block ×18, first 2 shown]
.long 0xD0CC0030, 0x0001003E
.long 0xD1000028, 0x00C250F2
	;; [unrolled: 1-line block ×28, first 2 shown]
.long 0xBEC41E3A
.long 0x7E600304
.long 0x7E620305
.long 0x7E640306
.long 0x7E660307
.long 0x7E680308
.long 0x7E6A0309
.long 0x7E6C030A
.long 0x7E6E030B
.long 0x9246FF20, 0x00000074
.long 0x800C460C
.long 0x820D800D
.long 0xE07C1000, 0x8003300D
.long 0xE07C1010, 0x8003340D
.long 0xBF8C0F71
.long 0xD0CC0030, 0x0001003E
.long 0xD1000028, 0x00C250F2
	;; [unrolled: 1-line block ×28, first 2 shown]
.long 0xBEC41E3A
.long 0x7E800304
	;; [unrolled: 1-line block ×12, first 2 shown]
.long 0xE07C1000, 0x8003400D
.long 0xE07C1010, 0x8003440D
.long 0xBF800000
.long 0x8E468222
	;; [unrolled: 1-line block ×4, first 2 shown]
.long 0xE05C1000, 0x8004180E
.long 0xE05C1010, 0x80041C0E
	;; [unrolled: 1-line block ×4, first 2 shown]
.long 0x241E1E82
.long 0xD9FE0000, 0x2000000F
.long 0xD9FE0010, 0x2400000F
	;; [unrolled: 1-line block ×4, first 2 shown]
.long 0x8E468222
.long 0x80104610
	;; [unrolled: 1-line block ×3, first 2 shown]
.long 0xE05C1000, 0x8004380E
.long 0xE05C1010, 0x80043C0E
	;; [unrolled: 1-line block ×18, first 2 shown]
.long 0xBF800001
.long 0x0A606028
	;; [unrolled: 1-line block ×18, first 2 shown]
.long 0xD0CC0030, 0x0001003E
.long 0xD1000028, 0x00C250F2
	;; [unrolled: 1-line block ×28, first 2 shown]
.long 0xBEC41E3A
.long 0x7E600304
	;; [unrolled: 1-line block ×12, first 2 shown]
.long 0xE07C1000, 0x8003300D
.long 0xE07C1010, 0x8003340D
.long 0xBF8C0F71
.long 0xD0CC0030, 0x0001003E
.long 0xD1000028, 0x00C250F2
.long 0xD1000029, 0x00C252F2
.long 0xD3B14040, 0x18028128
.long 0xD0CC0030, 0x0001003E
.long 0xD100002A, 0x00C254F2
.long 0xD100002B, 0x00C256F2
.long 0xD3B14042, 0x1802852A
.long 0xD0CC0030, 0x0001003E
.long 0xD100002C, 0x00C258F2
.long 0xD100002D, 0x00C25AF2
.long 0xD3B14044, 0x1802892C
.long 0xD0CC0030, 0x0001003E
.long 0xD100002E, 0x00C25CF2
.long 0xD100002F, 0x00C25EF2
.long 0xD3B14046, 0x18028D2E
.long 0xD13B0040, 0x00005338
.long 0xD13B0041, 0x00005339
.long 0xD13B0042, 0x0000533A
.long 0xD13B0043, 0x0000533B
.long 0xD13B0044, 0x0000533C
.long 0xD13B0045, 0x0000533D
.long 0xD13B0046, 0x0000533E
.long 0xD13B0047, 0x0000533F
.long 0xD3B24004, 0x18028120
.long 0xD3B24006, 0x18028522
.long 0xD3B24008, 0x18028924
.long 0xD3B2400A, 0x18028D26
.long 0xBEC41E3A
.long 0x7E800304
.long 0x7E820305
.long 0x7E840306
.long 0x7E860307
.long 0x7E880308
.long 0x7E8A0309
.long 0x7E8C030A
.long 0x7E8E030B
.long 0x8E468220
.long 0x800C460C
.long 0x820D800D
.long 0xE07C1000, 0x8003400D
.long 0xE07C1010, 0x8003440D
.long 0xBF800000
.long 0x9246FF22, 0x00000074
.long 0x80104610
.long 0x82118011
.long 0xE05C1000, 0x8004180E
.long 0xE05C1010, 0x80041C0E
	;; [unrolled: 1-line block ×4, first 2 shown]
.long 0x241E1E82
.long 0xD9FE0000, 0x2000000F
.long 0xD9FE0010, 0x2400000F
	;; [unrolled: 1-line block ×4, first 2 shown]
.long 0x8E468222
.long 0x80104610
	;; [unrolled: 1-line block ×3, first 2 shown]
.long 0xE05C1000, 0x8004380E
.long 0xE05C1010, 0x80043C0E
	;; [unrolled: 1-line block ×18, first 2 shown]
.long 0xBF800001
.long 0x0A606028
	;; [unrolled: 1-line block ×18, first 2 shown]
.long 0xD0CC0030, 0x0001003E
.long 0xD1000028, 0x00C250F2
	;; [unrolled: 1-line block ×28, first 2 shown]
.long 0xBEC41E3A
.long 0x7E600304
	;; [unrolled: 1-line block ×9, first 2 shown]
.long 0x9246FF20, 0x00000074
.long 0x800C460C
.long 0x820D800D
.long 0xE07C1000, 0x8003300D
.long 0xE07C1010, 0x8003340D
.long 0xBF8C0F71
.long 0xD0CC0030, 0x0001003E
.long 0xD1000028, 0x00C250F2
.long 0xD1000029, 0x00C252F2
.long 0xD3B14040, 0x18028128
.long 0xD0CC0030, 0x0001003E
.long 0xD100002A, 0x00C254F2
.long 0xD100002B, 0x00C256F2
.long 0xD3B14042, 0x1802852A
.long 0xD0CC0030, 0x0001003E
.long 0xD100002C, 0x00C258F2
.long 0xD100002D, 0x00C25AF2
.long 0xD3B14044, 0x1802892C
.long 0xD0CC0030, 0x0001003E
.long 0xD100002E, 0x00C25CF2
.long 0xD100002F, 0x00C25EF2
.long 0xD3B14046, 0x18028D2E
.long 0xD13B0040, 0x00005338
.long 0xD13B0041, 0x00005339
.long 0xD13B0042, 0x0000533A
.long 0xD13B0043, 0x0000533B
.long 0xD13B0044, 0x0000533C
.long 0xD13B0045, 0x0000533D
.long 0xD13B0046, 0x0000533E
.long 0xD13B0047, 0x0000533F
.long 0xD3B24004, 0x18028120
.long 0xD3B24006, 0x18028522
.long 0xD3B24008, 0x18028924
.long 0xD3B2400A, 0x18028D26
.long 0xBEC41E3A
.long 0x7E800304
	;; [unrolled: 1-line block ×12, first 2 shown]
.long 0xE07C1000, 0x8003400D
.long 0xE07C1010, 0x8003440D
.long 0xBF800000
.long 0x8E468222
	;; [unrolled: 1-line block ×4, first 2 shown]
.long 0xE05C1000, 0x8004180E
.long 0xE05C1010, 0x80041C0E
	;; [unrolled: 1-line block ×4, first 2 shown]
.long 0x241E1E82
.long 0xD9FE0000, 0x2000000F
.long 0xD9FE0010, 0x2400000F
	;; [unrolled: 1-line block ×4, first 2 shown]
.long 0x8E468222
.long 0x80104610
	;; [unrolled: 1-line block ×3, first 2 shown]
.long 0xE05C1000, 0x8004380E
.long 0xE05C1010, 0x80043C0E
	;; [unrolled: 1-line block ×18, first 2 shown]
.long 0xBF800001
.long 0x0A606028
	;; [unrolled: 1-line block ×18, first 2 shown]
.long 0xD0CC0030, 0x0001003E
.long 0xD1000028, 0x00C250F2
	;; [unrolled: 1-line block ×28, first 2 shown]
.long 0xBEC41E3A
.long 0x7E600304
	;; [unrolled: 1-line block ×12, first 2 shown]
.long 0xE07C1000, 0x8003300D
.long 0xE07C1010, 0x8003340D
.long 0xBF8C0F71
.long 0xD0CC0030, 0x0001003E
.long 0xD1000028, 0x00C250F2
	;; [unrolled: 1-line block ×28, first 2 shown]
.long 0xBEC41E3A
.long 0x7E800304
	;; [unrolled: 1-line block ×12, first 2 shown]
.long 0xE07C1000, 0x8003400D
.long 0xE07C1010, 0x8003440D
.long 0xBF800000
.long 0x9246FF22, 0x00000074
.long 0x80104610
.long 0x82118011
.long 0xE05C1000, 0x8004180E
.long 0xE05C1010, 0x80041C0E
	;; [unrolled: 1-line block ×4, first 2 shown]
.long 0x241E1E82
.long 0xD9FE0000, 0x2000000F
.long 0xD9FE0010, 0x2400000F
	;; [unrolled: 1-line block ×4, first 2 shown]
.long 0x8E468222
.long 0x80104610
	;; [unrolled: 1-line block ×3, first 2 shown]
.long 0xE05C1000, 0x8004380E
.long 0xE05C1010, 0x80043C0E
.long 0x7E600380
.long 0x7E620384
	;; [unrolled: 1-line block ×34, first 2 shown]
.long 0xD0CC0030, 0x0001003E
.long 0xD1000028, 0x00C250F2
	;; [unrolled: 1-line block ×28, first 2 shown]
.long 0xBEC41E3A
.long 0x7E600304
	;; [unrolled: 1-line block ×9, first 2 shown]
.long 0x9246FF20, 0x00000074
.long 0x800C460C
.long 0x820D800D
.long 0xE07C1000, 0x8003300D
.long 0xE07C1010, 0x8003340D
.long 0xBF8C0F71
.long 0xD0CC0030, 0x0001003E
.long 0xD1000028, 0x00C250F2
	;; [unrolled: 1-line block ×28, first 2 shown]
.long 0xBEC41E3A
.long 0x7E800304
	;; [unrolled: 1-line block ×12, first 2 shown]
.long 0xE07C1000, 0x8003400D
.long 0xE07C1010, 0x8003440D
.long 0xBF800000
.long 0x8E468222
	;; [unrolled: 1-line block ×4, first 2 shown]
.long 0xE05C1000, 0x8004180E
.long 0xE05C1010, 0x80041C0E
	;; [unrolled: 1-line block ×4, first 2 shown]
.long 0x241E1E82
.long 0xD9FE0000, 0x2000000F
.long 0xD9FE0010, 0x2400000F
	;; [unrolled: 1-line block ×4, first 2 shown]
.long 0x8E468222
.long 0x80104610
	;; [unrolled: 1-line block ×3, first 2 shown]
.long 0xE05C1000, 0x8004380E
.long 0xE05C1010, 0x80043C0E
.long 0x7E600382
.long 0x7E620386
	;; [unrolled: 1-line block ×34, first 2 shown]
.long 0xD0CC0030, 0x0001003E
.long 0xD1000028, 0x00C250F2
	;; [unrolled: 1-line block ×28, first 2 shown]
.long 0xBEC41E3A
.long 0x7E600304
	;; [unrolled: 1-line block ×12, first 2 shown]
.long 0xE07C1000, 0x8003300D
.long 0xE07C1010, 0x8003340D
.long 0xBF8C0F71
.long 0xD0CC0030, 0x0001003E
.long 0xD1000028, 0x00C250F2
.long 0xD1000029, 0x00C252F2
.long 0xD3B14040, 0x18028128
.long 0xD0CC0030, 0x0001003E
.long 0xD100002A, 0x00C254F2
.long 0xD100002B, 0x00C256F2
.long 0xD3B14042, 0x1802852A
.long 0xD0CC0030, 0x0001003E
.long 0xD100002C, 0x00C258F2
.long 0xD100002D, 0x00C25AF2
.long 0xD3B14044, 0x1802892C
.long 0xD0CC0030, 0x0001003E
.long 0xD100002E, 0x00C25CF2
.long 0xD100002F, 0x00C25EF2
.long 0xD3B14046, 0x18028D2E
.long 0xD13B0040, 0x00005338
.long 0xD13B0041, 0x00005339
.long 0xD13B0042, 0x0000533A
.long 0xD13B0043, 0x0000533B
.long 0xD13B0044, 0x0000533C
.long 0xD13B0045, 0x0000533D
.long 0xD13B0046, 0x0000533E
.long 0xD13B0047, 0x0000533F
.long 0xD3B24004, 0x18028120
.long 0xD3B24006, 0x18028522
.long 0xD3B24008, 0x18028924
.long 0xD3B2400A, 0x18028D26
.long 0xBEC41E3A
.long 0x7E800304
.long 0x7E820305
.long 0x7E840306
.long 0x7E860307
.long 0x7E880308
.long 0x7E8A0309
.long 0x7E8C030A
.long 0x7E8E030B
.long 0x8E468220
.long 0x800C460C
.long 0x820D800D
.long 0xE07C1000, 0x8003400D
.long 0xE07C1010, 0x8003440D
.long 0xBF800000
.long 0x9246FF22, 0x00000074
.long 0x80104610
.long 0x82118011
.long 0xE05C1000, 0x8004180E
.long 0xE05C1010, 0x80041C0E
	;; [unrolled: 1-line block ×4, first 2 shown]
.long 0x241E1E82
.long 0xD9FE0000, 0x2000000F
.long 0xD9FE0010, 0x2400000F
.long 0xE05C1000, 0x800F2810
.long 0xE05C1010, 0x800F2C10
.long 0x8E468222
.long 0x80104610
	;; [unrolled: 1-line block ×3, first 2 shown]
.long 0xE05C1000, 0x8004380E
.long 0xE05C1010, 0x80043C0E
.long 0x7E6003A0
.long 0x7E6203A4
	;; [unrolled: 1-line block ×34, first 2 shown]
.long 0xD0CC0030, 0x0001003E
.long 0xD1000028, 0x00C250F2
	;; [unrolled: 1-line block ×28, first 2 shown]
.long 0xBEC41E3A
.long 0x7E600304
	;; [unrolled: 1-line block ×9, first 2 shown]
.long 0x9246FF20, 0x00000074
.long 0x800C460C
.long 0x820D800D
.long 0xE07C1000, 0x8003300D
.long 0xE07C1010, 0x8003340D
.long 0xBF8C0F71
.long 0xD0CC0030, 0x0001003E
.long 0xD1000028, 0x00C250F2
	;; [unrolled: 1-line block ×28, first 2 shown]
.long 0xBEC41E3A
.long 0x7E800304
	;; [unrolled: 1-line block ×12, first 2 shown]
.long 0xE07C1000, 0x8003400D
.long 0xE07C1010, 0x8003440D
.long 0xBF800000
.long 0x8E468222
	;; [unrolled: 1-line block ×4, first 2 shown]
.long 0xE05C1000, 0x8004180E
.long 0xE05C1010, 0x80041C0E
	;; [unrolled: 1-line block ×4, first 2 shown]
.long 0x241E1E82
.long 0xD9FE0000, 0x2000000F
.long 0xD9FE0010, 0x2400000F
	;; [unrolled: 1-line block ×4, first 2 shown]
.long 0x8E468222
.long 0x80104610
	;; [unrolled: 1-line block ×3, first 2 shown]
.long 0xE05C1000, 0x8004380E
.long 0xE05C1010, 0x80043C0E
.long 0x7E6003A2
.long 0x7E6203A6
	;; [unrolled: 1-line block ×34, first 2 shown]
.long 0xD0CC0030, 0x0001003E
.long 0xD1000028, 0x00C250F2
.long 0xD1000029, 0x00C252F2
.long 0xD3B14030, 0x18026128
.long 0xD0CC0030, 0x0001003E
.long 0xD100002A, 0x00C254F2
.long 0xD100002B, 0x00C256F2
.long 0xD3B14032, 0x1802652A
.long 0xD0CC0030, 0x0001003E
.long 0xD100002C, 0x00C258F2
.long 0xD100002D, 0x00C25AF2
.long 0xD3B14034, 0x1802692C
.long 0xD0CC0030, 0x0001003E
.long 0xD100002E, 0x00C25CF2
.long 0xD100002F, 0x00C25EF2
.long 0xD3B14036, 0x18026D2E
.long 0xD13B0030, 0x00005318
.long 0xD13B0031, 0x00005319
.long 0xD13B0032, 0x0000531A
.long 0xD13B0033, 0x0000531B
.long 0xD13B0034, 0x0000531C
.long 0xD13B0035, 0x0000531D
.long 0xD13B0036, 0x0000531E
.long 0xD13B0037, 0x0000531F
.long 0xD3B24004, 0x18026120
.long 0xD3B24006, 0x18026522
.long 0xD3B24008, 0x18026924
.long 0xD3B2400A, 0x18026D26
.long 0xBEC41E3A
.long 0x7E600304
	;; [unrolled: 1-line block ×12, first 2 shown]
.long 0xE07C1000, 0x8003300D
.long 0xE07C1010, 0x8003340D
.long 0xBF8C0F71
.long 0xD0CC0030, 0x0001003E
.long 0xD1000028, 0x00C250F2
	;; [unrolled: 1-line block ×28, first 2 shown]
.long 0xBEC41E3A
.long 0x7E800304
	;; [unrolled: 1-line block ×12, first 2 shown]
.long 0xE07C1000, 0x8003400D
.long 0xE07C1010, 0x8003440D
.long 0xBF800000
.long 0x9246FF22, 0x00000074
.long 0x80104610
.long 0x82118011
.long 0xE05C1000, 0x8004180E
.long 0xE05C1010, 0x80041C0E
.long 0x924602FF, 0x00000100
.long 0xD135000F, 0x00008D00
.long 0x241E1E82
.long 0xD9FE0000, 0x2000000F
.long 0xD9FE0010, 0x2400000F
	;; [unrolled: 1-line block ×4, first 2 shown]
.long 0x8E468222
.long 0x80104610
	;; [unrolled: 1-line block ×3, first 2 shown]
.long 0xE05C1000, 0x8004380E
.long 0xE05C1010, 0x80043C0E
.long 0x7E6003C0
.long 0x7E6203C4
	;; [unrolled: 1-line block ×34, first 2 shown]
.long 0xD0CC0030, 0x0001003E
.long 0xD1000028, 0x00C250F2
.long 0xD1000029, 0x00C252F2
.long 0xD3B14030, 0x18026128
.long 0xD0CC0030, 0x0001003E
.long 0xD100002A, 0x00C254F2
.long 0xD100002B, 0x00C256F2
.long 0xD3B14032, 0x1802652A
.long 0xD0CC0030, 0x0001003E
.long 0xD100002C, 0x00C258F2
.long 0xD100002D, 0x00C25AF2
.long 0xD3B14034, 0x1802692C
.long 0xD0CC0030, 0x0001003E
.long 0xD100002E, 0x00C25CF2
.long 0xD100002F, 0x00C25EF2
.long 0xD3B14036, 0x18026D2E
.long 0xD13B0030, 0x00005318
.long 0xD13B0031, 0x00005319
.long 0xD13B0032, 0x0000531A
.long 0xD13B0033, 0x0000531B
.long 0xD13B0034, 0x0000531C
.long 0xD13B0035, 0x0000531D
.long 0xD13B0036, 0x0000531E
.long 0xD13B0037, 0x0000531F
.long 0xD3B24004, 0x18026120
.long 0xD3B24006, 0x18026522
.long 0xD3B24008, 0x18026924
.long 0xD3B2400A, 0x18026D26
.long 0xBEC41E3A
.long 0x7E600304
	;; [unrolled: 1-line block ×9, first 2 shown]
.long 0x9246FF20, 0x00000074
.long 0x800C460C
.long 0x820D800D
.long 0xE07C1000, 0x8003300D
.long 0xE07C1010, 0x8003340D
.long 0xBF8C0F71
.long 0xD0CC0030, 0x0001003E
.long 0xD1000028, 0x00C250F2
	;; [unrolled: 1-line block ×28, first 2 shown]
.long 0xBEC41E3A
.long 0x7E800304
	;; [unrolled: 1-line block ×12, first 2 shown]
.long 0xE07C1000, 0x8003400D
.long 0xE07C1010, 0x8003440D
.long 0xBF800000
.long 0x8E468222
	;; [unrolled: 1-line block ×4, first 2 shown]
.long 0xE05C1000, 0x8004180E
.long 0xE05C1010, 0x80041C0E
	;; [unrolled: 1-line block ×4, first 2 shown]
.long 0x241E1E82
.long 0xD9FE0000, 0x2000000F
.long 0xD9FE0010, 0x2400000F
	;; [unrolled: 1-line block ×4, first 2 shown]
.long 0x8E468222
.long 0x80104610
	;; [unrolled: 1-line block ×3, first 2 shown]
.long 0xE05C1000, 0x8004380E
.long 0xE05C1010, 0x80043C0E
.long 0x7E6003C2
.long 0x7E6203C6
	;; [unrolled: 1-line block ×34, first 2 shown]
.long 0xD0CC0030, 0x0001003E
.long 0xD1000028, 0x00C250F2
	;; [unrolled: 1-line block ×28, first 2 shown]
.long 0xBEC41E3A
.long 0x7E600304
.long 0x7E620305
.long 0x7E640306
.long 0x7E660307
.long 0x7E680308
.long 0x7E6A0309
.long 0x7E6C030A
.long 0x7E6E030B
.long 0x8E468220
.long 0x800C460C
.long 0x820D800D
.long 0xE07C1000, 0x8003300D
.long 0xE07C1010, 0x8003340D
.long 0xBF8C0F71
.long 0xD0CC0030, 0x0001003E
.long 0xD1000028, 0x00C250F2
	;; [unrolled: 1-line block ×28, first 2 shown]
.long 0xBEC41E3A
.long 0x7E800304
	;; [unrolled: 1-line block ×12, first 2 shown]
.long 0xE07C1000, 0x8003400D
.long 0xE07C1010, 0x8003440D
.long 0xBF800000
.long 0x9246FF22, 0x00000074
.long 0x80104610
.long 0x82118011
.long 0xE05C1000, 0x8004180E
.long 0xE05C1010, 0x80041C0E
	;; [unrolled: 1-line block ×4, first 2 shown]
.long 0x241E1E82
.long 0xD9FE0000, 0x2000000F
.long 0xD9FE0010, 0x2400000F
	;; [unrolled: 1-line block ×4, first 2 shown]
.long 0x8E468222
.long 0x80104610
.long 0x82118011
.long 0xE05C1000, 0x8004380E
.long 0xE05C1010, 0x80043C0E
.long 0x7E6003E0
.long 0x7E6203E4
	;; [unrolled: 1-line block ×34, first 2 shown]
.long 0xD0CC0030, 0x0001003E
.long 0xD1000028, 0x00C250F2
	;; [unrolled: 1-line block ×28, first 2 shown]
.long 0xBEC41E3A
.long 0x7E600304
	;; [unrolled: 1-line block ×9, first 2 shown]
.long 0x9246FF20, 0x00000074
.long 0x800C460C
.long 0x820D800D
.long 0xE07C1000, 0x8003300D
.long 0xE07C1010, 0x8003340D
.long 0xBF8C0F71
.long 0xD0CC0030, 0x0001003E
.long 0xD1000028, 0x00C250F2
	;; [unrolled: 1-line block ×28, first 2 shown]
.long 0xBEC41E3A
.long 0x7E800304
	;; [unrolled: 1-line block ×12, first 2 shown]
.long 0xE07C1000, 0x8003400D
.long 0xE07C1010, 0x8003440D
.long 0xBF800000
.long 0x8E468222
	;; [unrolled: 1-line block ×4, first 2 shown]
.long 0xE05C1000, 0x8004180E
.long 0xE05C1010, 0x80041C0E
	;; [unrolled: 1-line block ×4, first 2 shown]
.long 0x241E1E82
.long 0xD9FE0000, 0x2000000F
.long 0xD9FE0010, 0x2400000F
.long 0xE05C1000, 0x800F2810
.long 0xE05C1010, 0x800F2C10
.long 0x8E468222
.long 0x80104610
	;; [unrolled: 1-line block ×3, first 2 shown]
.long 0xE05C1000, 0x8004380E
.long 0xE05C1010, 0x80043C0E
.long 0x7E6003E2
.long 0x7E6203E6
.long 0x7E6403EA
.long 0x7E6603EE
.long 0x7E6803F2
.long 0x7E6A03F6
.long 0x7E6C03FA
.long 0x7E6E03FE
.long 0x7E8003E3
.long 0x7E8203E7
.long 0x7E8403EB
.long 0x7E8603EF
.long 0x7E8803F3
.long 0x7E8A03F7
.long 0x7E8C03FB
.long 0x7E8E03FF
.long 0xBF800001
.long 0x0A606028
.long 0x0A626228
.long 0x0A646428
.long 0x0A666628
.long 0x0A686828
.long 0x0A6A6A28
.long 0x0A6C6C28
.long 0x0A6E6E28
.long 0x0A808028
.long 0x0A828228
.long 0x0A848428
.long 0x0A868628
.long 0x0A888828
.long 0x0A8A8A28
.long 0x0A8C8C28
.long 0x0A8E8E28
.long 0xBF8C0072
.long 0xD0CC0030, 0x0001003E
.long 0xD1000028, 0x00C250F2
	;; [unrolled: 1-line block ×28, first 2 shown]
.long 0xBEC41E3A
.long 0x7E600304
	;; [unrolled: 1-line block ×12, first 2 shown]
.long 0xE07C1000, 0x8003300D
.long 0xE07C1010, 0x8003340D
.long 0xBF8C0F71
.long 0xD0CC0030, 0x0001003E
.long 0xD1000028, 0x00C250F2
	;; [unrolled: 1-line block ×28, first 2 shown]
.long 0xBEC41E3A
.long 0x7E800304
	;; [unrolled: 1-line block ×12, first 2 shown]
.long 0xE07C1000, 0x8003400D
.long 0xE07C1010, 0x8003440D
.long 0xBF800000
.long 0xBF821A0C
.long 0x7E6602FF, 0x80000000
.long 0xD0C90046, 0x00002900
	;; [unrolled: 1-line block ×3, first 2 shown]
.long 0x86CA4A46
.long 0xD1FE000D, 0x020A0102
.long 0xD100000D, 0x012A1B33
	;; [unrolled: 1-line block ×6, first 2 shown]
.long 0x241C1C82
.long 0xD100000E, 0x012A1D33
.long 0xBF8CC07F
.long 0xBF8A0000
.long 0xD9FE0000, 0x1800000E
.long 0xD9FE0010, 0x1C00000E
.long 0x241E0082
.long 0xE05C1000, 0x800F200F
.long 0xE05C1010, 0x800F240F
	;; [unrolled: 1-line block ×9, first 2 shown]
.long 0x86CA4A46
.long 0xD1FE0030, 0x020A0102
.long 0xD1000030, 0x012A6133
	;; [unrolled: 1-line block ×6, first 2 shown]
.long 0x24626282
.long 0xD1000031, 0x012A6333
.long 0x24640082
.long 0xD1FE0030, 0x020A0103
.long 0xD1000030, 0x012A6133
	;; [unrolled: 1-line block ×18, first 2 shown]
.long 0xBF800001
.long 0x0A505028
	;; [unrolled: 1-line block ×18, first 2 shown]
.long 0xD0CC0030, 0x0001003E
.long 0xD1000020, 0x00C240F2
	;; [unrolled: 1-line block ×28, first 2 shown]
.long 0xBEC41E3A
.long 0x7E500304
	;; [unrolled: 1-line block ×9, first 2 shown]
.long 0xE07C1000, 0x8003280D
.long 0xE07C1010, 0x80032C0D
	;; [unrolled: 1-line block ×30, first 2 shown]
.long 0xBEC41E3A
.long 0x7E800304
.long 0x7E820305
.long 0x7E840306
.long 0x7E860307
.long 0x7E880308
.long 0x7E8A0309
.long 0x7E8C030A
.long 0x7E8E030B
.long 0xE07C1000, 0x80034030
.long 0xE07C1010, 0x80034430
.long 0xBF800000
.long 0x7E6602FF, 0x80000000
.long 0xD1196A01, 0x00010301
	;; [unrolled: 1-line block ×6, first 2 shown]
.long 0x86CA4A46
.long 0xD1FE000D, 0x020A0102
.long 0xD100000D, 0x012A1B33
	;; [unrolled: 1-line block ×6, first 2 shown]
.long 0x241C1C82
.long 0xD100000E, 0x012A1D33
.long 0xD9FE0000, 0x1800000E
	;; [unrolled: 1-line block ×3, first 2 shown]
.long 0x241E0082
.long 0xE05C1000, 0x800F200F
.long 0xE05C1010, 0x800F240F
	;; [unrolled: 1-line block ×9, first 2 shown]
.long 0x86CA4A46
.long 0xD1FE0030, 0x020A0102
.long 0xD1000030, 0x012A6133
	;; [unrolled: 1-line block ×6, first 2 shown]
.long 0x24626282
.long 0xD1000031, 0x012A6333
.long 0x24640082
.long 0xD1FE0030, 0x020A0103
.long 0xD1000030, 0x012A6133
.long 0xD3D84028, 0x18000102
.long 0xD3D84029, 0x18000106
.long 0xD3D8402A, 0x1800010A
.long 0xD3D8402B, 0x1800010E
.long 0xD3D8402C, 0x18000112
.long 0xD3D8402D, 0x18000116
.long 0xD3D8402E, 0x1800011A
.long 0xD3D8402F, 0x1800011E
.long 0xD3D84040, 0x18000103
.long 0xD3D84041, 0x18000107
.long 0xD3D84042, 0x1800010B
.long 0xD3D84043, 0x1800010F
.long 0xD3D84044, 0x18000113
.long 0xD3D84045, 0x18000117
.long 0xD3D84046, 0x1800011B
.long 0xD3D84047, 0x1800011F
.long 0xBF800001
.long 0x0A505028
	;; [unrolled: 1-line block ×18, first 2 shown]
.long 0xD0CC0030, 0x0001003E
.long 0xD1000020, 0x00C240F2
	;; [unrolled: 1-line block ×28, first 2 shown]
.long 0xBEC41E3A
.long 0x7E500304
	;; [unrolled: 1-line block ×9, first 2 shown]
.long 0xE07C1000, 0x8003280D
.long 0xE07C1010, 0x80032C0D
	;; [unrolled: 1-line block ×30, first 2 shown]
.long 0xBEC41E3A
.long 0x7E800304
	;; [unrolled: 1-line block ×9, first 2 shown]
.long 0xE07C1000, 0x80034030
.long 0xE07C1010, 0x80034430
.long 0xBF800000
.long 0x7E6602FF, 0x80000000
.long 0xD1196A01, 0x00013B01
.long 0x92469D22
.long 0xD1340002, 0x00008D02
.long 0x92469D20
.long 0xD1340003, 0x00008D03
.long 0xD0C90046, 0x00002900
.long 0xD0C9004A, 0x00002B01
.long 0x86CA4A46
.long 0xD1FE000D, 0x020A0102
.long 0xD100000D, 0x012A1B33
	;; [unrolled: 1-line block ×6, first 2 shown]
.long 0x241C1C82
.long 0xD100000E, 0x012A1D33
.long 0xD9FE0000, 0x1800000E
	;; [unrolled: 1-line block ×3, first 2 shown]
.long 0x241E0082
.long 0xE05C1000, 0x800F200F
.long 0xE05C1010, 0x800F240F
.long 0xD1FE000D, 0x020A0103
.long 0xD100000D, 0x012A1B33
.long 0xD1196A01, 0x00010301
.long 0xD1340002, 0x00004502
.long 0xD1340003, 0x00004103
.long 0xD0C90046, 0x00002900
.long 0xD0C9004A, 0x00002B01
.long 0x86CA4A46
.long 0xD1FE0030, 0x020A0102
.long 0xD1000030, 0x012A6133
	;; [unrolled: 1-line block ×6, first 2 shown]
.long 0x24626282
.long 0xD1000031, 0x012A6333
.long 0x24640082
.long 0xD1FE0030, 0x020A0103
.long 0xD1000030, 0x012A6133
.long 0xD3D84028, 0x18000120
.long 0xD3D84029, 0x18000124
.long 0xD3D8402A, 0x18000128
.long 0xD3D8402B, 0x1800012C
.long 0xD3D8402C, 0x18000130
.long 0xD3D8402D, 0x18000134
.long 0xD3D8402E, 0x18000138
.long 0xD3D8402F, 0x1800013C
.long 0xD3D84040, 0x18000121
.long 0xD3D84041, 0x18000125
.long 0xD3D84042, 0x18000129
.long 0xD3D84043, 0x1800012D
.long 0xD3D84044, 0x18000131
.long 0xD3D84045, 0x18000135
.long 0xD3D84046, 0x18000139
.long 0xD3D84047, 0x1800013D
.long 0xBF800001
.long 0x0A505028
.long 0x0A525228
.long 0x0A545428
.long 0x0A565628
.long 0x0A585828
.long 0x0A5A5A28
.long 0x0A5C5C28
.long 0x0A5E5E28
.long 0x0A808028
.long 0x0A828228
.long 0x0A848428
.long 0x0A868628
.long 0x0A888828
.long 0x0A8A8A28
.long 0x0A8C8C28
.long 0x0A8E8E28
.long 0xBF8C0000
.long 0xD0CC0030, 0x0001003E
.long 0xD1000020, 0x00C240F2
	;; [unrolled: 1-line block ×28, first 2 shown]
.long 0xBEC41E3A
.long 0x7E500304
.long 0x7E520305
.long 0x7E540306
.long 0x7E560307
.long 0x7E580308
.long 0x7E5A0309
.long 0x7E5C030A
.long 0x7E5E030B
.long 0xE07C1000, 0x8003280D
.long 0xE07C1010, 0x80032C0D
	;; [unrolled: 1-line block ×30, first 2 shown]
.long 0xBEC41E3A
.long 0x7E800304
.long 0x7E820305
.long 0x7E840306
.long 0x7E860307
.long 0x7E880308
.long 0x7E8A0309
.long 0x7E8C030A
.long 0x7E8E030B
.long 0xE07C1000, 0x80034030
.long 0xE07C1010, 0x80034430
.long 0xBF800000
.long 0x7E6602FF, 0x80000000
.long 0xD1196A01, 0x00010301
	;; [unrolled: 1-line block ×6, first 2 shown]
.long 0x86CA4A46
.long 0xD1FE000D, 0x020A0102
.long 0xD100000D, 0x012A1B33
	;; [unrolled: 1-line block ×6, first 2 shown]
.long 0x241C1C82
.long 0xD100000E, 0x012A1D33
.long 0xD9FE0000, 0x1800000E
	;; [unrolled: 1-line block ×3, first 2 shown]
.long 0x241E0082
.long 0xE05C1000, 0x800F200F
.long 0xE05C1010, 0x800F240F
	;; [unrolled: 1-line block ×9, first 2 shown]
.long 0x86CA4A46
.long 0xD1FE0030, 0x020A0102
.long 0xD1000030, 0x012A6133
	;; [unrolled: 1-line block ×6, first 2 shown]
.long 0x24626282
.long 0xD1000031, 0x012A6333
.long 0x24640082
.long 0xD1FE0030, 0x020A0103
.long 0xD1000030, 0x012A6133
	;; [unrolled: 1-line block ×18, first 2 shown]
.long 0xBF800001
.long 0x0A505028
	;; [unrolled: 1-line block ×18, first 2 shown]
.long 0xD0CC0030, 0x0001003E
.long 0xD1000020, 0x00C240F2
	;; [unrolled: 1-line block ×28, first 2 shown]
.long 0xBEC41E3A
.long 0x7E500304
	;; [unrolled: 1-line block ×9, first 2 shown]
.long 0xE07C1000, 0x8003280D
.long 0xE07C1010, 0x80032C0D
	;; [unrolled: 1-line block ×30, first 2 shown]
.long 0xBEC41E3A
.long 0x7E800304
	;; [unrolled: 1-line block ×9, first 2 shown]
.long 0xE07C1000, 0x80034030
.long 0xE07C1010, 0x80034430
.long 0xBF800000
.long 0x7E6602FF, 0x80000000
.long 0xD1196A01, 0x00013B01
.long 0x92469D22
.long 0xD1340002, 0x00008D02
.long 0x92469D20
.long 0xD1340003, 0x00008D03
.long 0xD0C90046, 0x00002900
	;; [unrolled: 1-line block ×3, first 2 shown]
.long 0x86CA4A46
.long 0xD1FE000D, 0x020A0102
.long 0xD100000D, 0x012A1B33
	;; [unrolled: 1-line block ×6, first 2 shown]
.long 0x241C1C82
.long 0xD100000E, 0x012A1D33
.long 0xD9FE0000, 0x1800000E
.long 0xD9FE0010, 0x1C00000E
.long 0x241E0082
.long 0xE05C1000, 0x800F200F
.long 0xE05C1010, 0x800F240F
	;; [unrolled: 1-line block ×9, first 2 shown]
.long 0x86CA4A46
.long 0xD1FE0030, 0x020A0102
.long 0xD1000030, 0x012A6133
	;; [unrolled: 1-line block ×6, first 2 shown]
.long 0x24626282
.long 0xD1000031, 0x012A6333
.long 0x24640082
.long 0xD1FE0030, 0x020A0103
.long 0xD1000030, 0x012A6133
.long 0xD3D84028, 0x18000140
.long 0xD3D84029, 0x18000144
.long 0xD3D8402A, 0x18000148
.long 0xD3D8402B, 0x1800014C
.long 0xD3D8402C, 0x18000150
.long 0xD3D8402D, 0x18000154
.long 0xD3D8402E, 0x18000158
.long 0xD3D8402F, 0x1800015C
.long 0xD3D84040, 0x18000141
.long 0xD3D84041, 0x18000145
.long 0xD3D84042, 0x18000149
.long 0xD3D84043, 0x1800014D
.long 0xD3D84044, 0x18000151
.long 0xD3D84045, 0x18000155
.long 0xD3D84046, 0x18000159
.long 0xD3D84047, 0x1800015D
.long 0xBF800001
.long 0x0A505028
	;; [unrolled: 1-line block ×18, first 2 shown]
.long 0xD0CC0030, 0x0001003E
.long 0xD1000020, 0x00C240F2
.long 0xD1000021, 0x00C242F2
.long 0xD3B14028, 0x18025120
.long 0xD0CC0030, 0x0001003E
.long 0xD1000022, 0x00C244F2
.long 0xD1000023, 0x00C246F2
.long 0xD3B1402A, 0x18025522
.long 0xD0CC0030, 0x0001003E
.long 0xD1000024, 0x00C248F2
.long 0xD1000025, 0x00C24AF2
.long 0xD3B1402C, 0x18025924
.long 0xD0CC0030, 0x0001003E
.long 0xD1000026, 0x00C24CF2
.long 0xD1000027, 0x00C24EF2
.long 0xD3B1402E, 0x18025D26
.long 0xD13B0028, 0x00005310
.long 0xD13B0029, 0x00005311
.long 0xD13B002A, 0x00005312
.long 0xD13B002B, 0x00005313
.long 0xD13B002C, 0x00005314
.long 0xD13B002D, 0x00005315
.long 0xD13B002E, 0x00005316
.long 0xD13B002F, 0x00005317
.long 0xD3B24004, 0x18025118
.long 0xD3B24006, 0x1802551A
.long 0xD3B24008, 0x1802591C
.long 0xD3B2400A, 0x18025D1E
.long 0xBEC41E3A
.long 0x7E500304
	;; [unrolled: 1-line block ×9, first 2 shown]
.long 0xE07C1000, 0x8003280D
.long 0xE07C1010, 0x80032C0D
	;; [unrolled: 1-line block ×30, first 2 shown]
.long 0xBEC41E3A
.long 0x7E800304
	;; [unrolled: 1-line block ×9, first 2 shown]
.long 0xE07C1000, 0x80034030
.long 0xE07C1010, 0x80034430
.long 0xBF800000
.long 0x7E6602FF, 0x80000000
.long 0xD1196A01, 0x00010301
	;; [unrolled: 1-line block ×6, first 2 shown]
.long 0x86CA4A46
.long 0xD1FE000D, 0x020A0102
.long 0xD100000D, 0x012A1B33
	;; [unrolled: 1-line block ×6, first 2 shown]
.long 0x241C1C82
.long 0xD100000E, 0x012A1D33
.long 0xD9FE0000, 0x1800000E
.long 0xD9FE0010, 0x1C00000E
.long 0x241E0082
.long 0xE05C1000, 0x800F200F
.long 0xE05C1010, 0x800F240F
.long 0xD1FE000D, 0x020A0103
.long 0xD100000D, 0x012A1B33
.long 0xD1196A01, 0x00010301
.long 0xD1340002, 0x00004502
.long 0xD1340003, 0x00004103
.long 0xD0C90046, 0x00002900
.long 0xD0C9004A, 0x00002B01
.long 0x86CA4A46
.long 0xD1FE0030, 0x020A0102
.long 0xD1000030, 0x012A6133
	;; [unrolled: 1-line block ×6, first 2 shown]
.long 0x24626282
.long 0xD1000031, 0x012A6333
.long 0x24640082
.long 0xD1FE0030, 0x020A0103
.long 0xD1000030, 0x012A6133
	;; [unrolled: 1-line block ×18, first 2 shown]
.long 0xBF800001
.long 0x0A505028
	;; [unrolled: 1-line block ×18, first 2 shown]
.long 0xD0CC0030, 0x0001003E
.long 0xD1000020, 0x00C240F2
	;; [unrolled: 1-line block ×28, first 2 shown]
.long 0xBEC41E3A
.long 0x7E500304
	;; [unrolled: 1-line block ×9, first 2 shown]
.long 0xE07C1000, 0x8003280D
.long 0xE07C1010, 0x80032C0D
	;; [unrolled: 1-line block ×30, first 2 shown]
.long 0xBEC41E3A
.long 0x7E800304
	;; [unrolled: 1-line block ×9, first 2 shown]
.long 0xE07C1000, 0x80034030
.long 0xE07C1010, 0x80034430
.long 0xBF800000
.long 0x7E6602FF, 0x80000000
.long 0xD1196A01, 0x00013B01
.long 0x92469D22
.long 0xD1340002, 0x00008D02
.long 0x92469D20
.long 0xD1340003, 0x00008D03
.long 0xD0C90046, 0x00002900
	;; [unrolled: 1-line block ×3, first 2 shown]
.long 0x86CA4A46
.long 0xD1FE000D, 0x020A0102
.long 0xD100000D, 0x012A1B33
	;; [unrolled: 1-line block ×6, first 2 shown]
.long 0x241C1C82
.long 0xD100000E, 0x012A1D33
.long 0xD9FE0000, 0x1800000E
	;; [unrolled: 1-line block ×3, first 2 shown]
.long 0x241E0082
.long 0xE05C1000, 0x800F200F
.long 0xE05C1010, 0x800F240F
	;; [unrolled: 1-line block ×9, first 2 shown]
.long 0x86CA4A46
.long 0xD1FE0030, 0x020A0102
.long 0xD1000030, 0x012A6133
	;; [unrolled: 1-line block ×6, first 2 shown]
.long 0x24626282
.long 0xD1000031, 0x012A6333
.long 0x24640082
.long 0xD1FE0030, 0x020A0103
.long 0xD1000030, 0x012A6133
	;; [unrolled: 1-line block ×18, first 2 shown]
.long 0xBF800001
.long 0x0A505028
	;; [unrolled: 1-line block ×18, first 2 shown]
.long 0xD0CC0030, 0x0001003E
.long 0xD1000020, 0x00C240F2
	;; [unrolled: 1-line block ×28, first 2 shown]
.long 0xBEC41E3A
.long 0x7E500304
	;; [unrolled: 1-line block ×9, first 2 shown]
.long 0xE07C1000, 0x8003280D
.long 0xE07C1010, 0x80032C0D
	;; [unrolled: 1-line block ×30, first 2 shown]
.long 0xBEC41E3A
.long 0x7E800304
	;; [unrolled: 1-line block ×9, first 2 shown]
.long 0xE07C1000, 0x80034030
.long 0xE07C1010, 0x80034430
.long 0xBF800000
.long 0x7E6602FF, 0x80000000
.long 0xD1196A01, 0x00010301
	;; [unrolled: 1-line block ×6, first 2 shown]
.long 0x86CA4A46
.long 0xD1FE000D, 0x020A0102
.long 0xD100000D, 0x012A1B33
	;; [unrolled: 1-line block ×6, first 2 shown]
.long 0x241C1C82
.long 0xD100000E, 0x012A1D33
.long 0xD9FE0000, 0x1800000E
	;; [unrolled: 1-line block ×3, first 2 shown]
.long 0x241E0082
.long 0xE05C1000, 0x800F200F
.long 0xE05C1010, 0x800F240F
	;; [unrolled: 1-line block ×9, first 2 shown]
.long 0x86CA4A46
.long 0xD1FE0030, 0x020A0102
.long 0xD1000030, 0x012A6133
	;; [unrolled: 1-line block ×6, first 2 shown]
.long 0x24626282
.long 0xD1000031, 0x012A6333
.long 0x24640082
.long 0xD1FE0030, 0x020A0103
.long 0xD1000030, 0x012A6133
	;; [unrolled: 1-line block ×18, first 2 shown]
.long 0xBF800001
.long 0x0A505028
	;; [unrolled: 1-line block ×18, first 2 shown]
.long 0xD0CC0030, 0x0001003E
.long 0xD1000020, 0x00C240F2
	;; [unrolled: 1-line block ×28, first 2 shown]
.long 0xBEC41E3A
.long 0x7E500304
	;; [unrolled: 1-line block ×9, first 2 shown]
.long 0xE07C1000, 0x8003280D
.long 0xE07C1010, 0x80032C0D
	;; [unrolled: 1-line block ×30, first 2 shown]
.long 0xBEC41E3A
.long 0x7E800304
.long 0x7E820305
.long 0x7E840306
.long 0x7E860307
.long 0x7E880308
.long 0x7E8A0309
.long 0x7E8C030A
.long 0x7E8E030B
.long 0xE07C1000, 0x80034030
.long 0xE07C1010, 0x80034430
.long 0xBF800000
.long 0x7E6602FF, 0x80000000
.long 0xD1196A01, 0x00013B01
.long 0x92469D22
.long 0xD1340002, 0x00008D02
.long 0x92469D20
.long 0xD1340003, 0x00008D03
.long 0xD0C90046, 0x00002900
	;; [unrolled: 1-line block ×3, first 2 shown]
.long 0x86CA4A46
.long 0xD1FE000D, 0x020A0102
.long 0xD100000D, 0x012A1B33
	;; [unrolled: 1-line block ×6, first 2 shown]
.long 0x241C1C82
.long 0xD100000E, 0x012A1D33
.long 0xD9FE0000, 0x1800000E
	;; [unrolled: 1-line block ×3, first 2 shown]
.long 0x241E0082
.long 0xE05C1000, 0x800F200F
.long 0xE05C1010, 0x800F240F
	;; [unrolled: 1-line block ×9, first 2 shown]
.long 0x86CA4A46
.long 0xD1FE0030, 0x020A0102
.long 0xD1000030, 0x012A6133
	;; [unrolled: 1-line block ×6, first 2 shown]
.long 0x24626282
.long 0xD1000031, 0x012A6333
.long 0x24640082
.long 0xD1FE0030, 0x020A0103
.long 0xD1000030, 0x012A6133
	;; [unrolled: 1-line block ×18, first 2 shown]
.long 0xBF800001
.long 0x0A505028
	;; [unrolled: 1-line block ×18, first 2 shown]
.long 0xD0CC0030, 0x0001003E
.long 0xD1000020, 0x00C240F2
	;; [unrolled: 1-line block ×28, first 2 shown]
.long 0xBEC41E3A
.long 0x7E500304
	;; [unrolled: 1-line block ×9, first 2 shown]
.long 0xE07C1000, 0x8003280D
.long 0xE07C1010, 0x80032C0D
	;; [unrolled: 1-line block ×30, first 2 shown]
.long 0xBEC41E3A
.long 0x7E800304
	;; [unrolled: 1-line block ×9, first 2 shown]
.long 0xE07C1000, 0x80034030
.long 0xE07C1010, 0x80034430
.long 0xBF800000
.long 0x7E6602FF, 0x80000000
.long 0xD1196A01, 0x00010301
	;; [unrolled: 1-line block ×6, first 2 shown]
.long 0x86CA4A46
.long 0xD1FE000D, 0x020A0102
.long 0xD100000D, 0x012A1B33
	;; [unrolled: 1-line block ×6, first 2 shown]
.long 0x241C1C82
.long 0xD100000E, 0x012A1D33
.long 0xD9FE0000, 0x1800000E
	;; [unrolled: 1-line block ×3, first 2 shown]
.long 0x241E0082
.long 0xE05C1000, 0x800F200F
.long 0xE05C1010, 0x800F240F
	;; [unrolled: 1-line block ×9, first 2 shown]
.long 0x86CA4A46
.long 0xD1FE0030, 0x020A0102
.long 0xD1000030, 0x012A6133
	;; [unrolled: 1-line block ×6, first 2 shown]
.long 0x24626282
.long 0xD1000031, 0x012A6333
.long 0x24640082
.long 0xD1FE0030, 0x020A0103
.long 0xD1000030, 0x012A6133
	;; [unrolled: 1-line block ×18, first 2 shown]
.long 0xBF800001
.long 0x0A505028
	;; [unrolled: 1-line block ×18, first 2 shown]
.long 0xD0CC0030, 0x0001003E
.long 0xD1000020, 0x00C240F2
	;; [unrolled: 1-line block ×28, first 2 shown]
.long 0xBEC41E3A
.long 0x7E500304
	;; [unrolled: 1-line block ×9, first 2 shown]
.long 0xE07C1000, 0x8003280D
.long 0xE07C1010, 0x80032C0D
.long 0xD0CC0030, 0x0001003E
.long 0xD1000020, 0x00C240F2
.long 0xD1000021, 0x00C242F2
.long 0xD3B14040, 0x18028120
.long 0xD0CC0030, 0x0001003E
.long 0xD1000022, 0x00C244F2
.long 0xD1000023, 0x00C246F2
.long 0xD3B14042, 0x18028522
.long 0xD0CC0030, 0x0001003E
.long 0xD1000024, 0x00C248F2
.long 0xD1000025, 0x00C24AF2
.long 0xD3B14044, 0x18028924
.long 0xD0CC0030, 0x0001003E
.long 0xD1000026, 0x00C24CF2
.long 0xD1000027, 0x00C24EF2
.long 0xD3B14046, 0x18028D26
.long 0xD13B0040, 0x00005338
.long 0xD13B0041, 0x00005339
.long 0xD13B0042, 0x0000533A
.long 0xD13B0043, 0x0000533B
.long 0xD13B0044, 0x0000533C
.long 0xD13B0045, 0x0000533D
.long 0xD13B0046, 0x0000533E
.long 0xD13B0047, 0x0000533F
.long 0xD3B24004, 0x18028118
.long 0xD3B24006, 0x1802851A
.long 0xD3B24008, 0x1802891C
.long 0xD3B2400A, 0x18028D1E
.long 0xBEC41E3A
.long 0x7E800304
	;; [unrolled: 1-line block ×9, first 2 shown]
.long 0xE07C1000, 0x80034030
.long 0xE07C1010, 0x80034430
.long 0xBF800000
.long 0x7E6602FF, 0x80000000
.long 0xD1196A01, 0x00013B01
.long 0x92469D22
.long 0xD1340002, 0x00008D02
.long 0x92469D20
.long 0xD1340003, 0x00008D03
.long 0xD0C90046, 0x00002900
	;; [unrolled: 1-line block ×3, first 2 shown]
.long 0x86CA4A46
.long 0xD1FE000D, 0x020A0102
.long 0xD100000D, 0x012A1B33
	;; [unrolled: 1-line block ×6, first 2 shown]
.long 0x241C1C82
.long 0xD100000E, 0x012A1D33
.long 0xD9FE0000, 0x1800000E
	;; [unrolled: 1-line block ×3, first 2 shown]
.long 0x241E0082
.long 0xE05C1000, 0x800F200F
.long 0xE05C1010, 0x800F240F
	;; [unrolled: 1-line block ×9, first 2 shown]
.long 0x86CA4A46
.long 0xD1FE0030, 0x020A0102
.long 0xD1000030, 0x012A6133
	;; [unrolled: 1-line block ×6, first 2 shown]
.long 0x24626282
.long 0xD1000031, 0x012A6333
.long 0x24640082
.long 0xD1FE0030, 0x020A0103
.long 0xD1000030, 0x012A6133
	;; [unrolled: 1-line block ×18, first 2 shown]
.long 0xBF800001
.long 0x0A505028
	;; [unrolled: 1-line block ×18, first 2 shown]
.long 0xD0CC0030, 0x0001003E
.long 0xD1000020, 0x00C240F2
	;; [unrolled: 1-line block ×28, first 2 shown]
.long 0xBEC41E3A
.long 0x7E500304
	;; [unrolled: 1-line block ×9, first 2 shown]
.long 0xE07C1000, 0x8003280D
.long 0xE07C1010, 0x80032C0D
	;; [unrolled: 1-line block ×30, first 2 shown]
.long 0xBEC41E3A
.long 0x7E800304
	;; [unrolled: 1-line block ×9, first 2 shown]
.long 0xE07C1000, 0x80034030
.long 0xE07C1010, 0x80034430
.long 0xBF800000
.long 0x7E6602FF, 0x80000000
.long 0xD1196A01, 0x00010301
	;; [unrolled: 1-line block ×6, first 2 shown]
.long 0x86CA4A46
.long 0xD1FE000D, 0x020A0102
.long 0xD100000D, 0x012A1B33
.long 0xE05C1000, 0x8004100D
.long 0xE05C1010, 0x8004140D
.long 0x924602FF, 0x00000100
.long 0xD135000E, 0x00008D00
.long 0x241C1C82
.long 0xD100000E, 0x012A1D33
.long 0xD9FE0000, 0x1800000E
	;; [unrolled: 1-line block ×3, first 2 shown]
.long 0x241E0082
.long 0xE05C1000, 0x800F200F
.long 0xE05C1010, 0x800F240F
	;; [unrolled: 1-line block ×9, first 2 shown]
.long 0x86CA4A46
.long 0xD1FE0030, 0x020A0102
.long 0xD1000030, 0x012A6133
	;; [unrolled: 1-line block ×6, first 2 shown]
.long 0x24626282
.long 0xD1000031, 0x012A6333
.long 0x24640082
.long 0xD1FE0030, 0x020A0103
.long 0xD1000030, 0x012A6133
	;; [unrolled: 1-line block ×18, first 2 shown]
.long 0xBF800001
.long 0x0A505028
	;; [unrolled: 1-line block ×18, first 2 shown]
.long 0xD0CC0030, 0x0001003E
.long 0xD1000020, 0x00C240F2
	;; [unrolled: 1-line block ×28, first 2 shown]
.long 0xBEC41E3A
.long 0x7E500304
	;; [unrolled: 1-line block ×9, first 2 shown]
.long 0xE07C1000, 0x8003280D
.long 0xE07C1010, 0x80032C0D
	;; [unrolled: 1-line block ×30, first 2 shown]
.long 0xBEC41E3A
.long 0x7E800304
	;; [unrolled: 1-line block ×9, first 2 shown]
.long 0xE07C1000, 0x80034030
.long 0xE07C1010, 0x80034430
.long 0xBF800000
.long 0x7E6602FF, 0x80000000
.long 0xD1196A01, 0x00013B01
.long 0x92469D22
.long 0xD1340002, 0x00008D02
.long 0x92469D20
.long 0xD1340003, 0x00008D03
.long 0xD0C90046, 0x00002900
	;; [unrolled: 1-line block ×3, first 2 shown]
.long 0x86CA4A46
.long 0xD1FE000D, 0x020A0102
.long 0xD100000D, 0x012A1B33
	;; [unrolled: 1-line block ×6, first 2 shown]
.long 0x241C1C82
.long 0xD100000E, 0x012A1D33
.long 0xD9FE0000, 0x1800000E
	;; [unrolled: 1-line block ×3, first 2 shown]
.long 0x241E0082
.long 0xE05C1000, 0x800F200F
.long 0xE05C1010, 0x800F240F
	;; [unrolled: 1-line block ×9, first 2 shown]
.long 0x86CA4A46
.long 0xD1FE0030, 0x020A0102
.long 0xD1000030, 0x012A6133
	;; [unrolled: 1-line block ×6, first 2 shown]
.long 0x24626282
.long 0xD1000031, 0x012A6333
.long 0x24640082
.long 0xD1FE0030, 0x020A0103
.long 0xD1000030, 0x012A6133
	;; [unrolled: 1-line block ×18, first 2 shown]
.long 0xBF800001
.long 0x0A505028
	;; [unrolled: 1-line block ×18, first 2 shown]
.long 0xD0CC0030, 0x0001003E
.long 0xD1000020, 0x00C240F2
	;; [unrolled: 1-line block ×28, first 2 shown]
.long 0xBEC41E3A
.long 0x7E500304
	;; [unrolled: 1-line block ×9, first 2 shown]
.long 0xE07C1000, 0x8003280D
.long 0xE07C1010, 0x80032C0D
	;; [unrolled: 1-line block ×30, first 2 shown]
.long 0xBEC41E3A
.long 0x7E800304
	;; [unrolled: 1-line block ×9, first 2 shown]
.long 0xE07C1000, 0x80034030
.long 0xE07C1010, 0x80034430
.long 0xBF800000
.long 0x7E6602FF, 0x80000000
.long 0xD1196A01, 0x00010301
	;; [unrolled: 1-line block ×6, first 2 shown]
.long 0x86CA4A46
.long 0xD1FE000D, 0x020A0102
.long 0xD100000D, 0x012A1B33
	;; [unrolled: 1-line block ×6, first 2 shown]
.long 0x241C1C82
.long 0xD100000E, 0x012A1D33
.long 0xD9FE0000, 0x1800000E
.long 0xD9FE0010, 0x1C00000E
.long 0x241E0082
.long 0xE05C1000, 0x800F200F
.long 0xE05C1010, 0x800F240F
	;; [unrolled: 1-line block ×9, first 2 shown]
.long 0x86CA4A46
.long 0xD1FE0030, 0x020A0102
.long 0xD1000030, 0x012A6133
	;; [unrolled: 1-line block ×6, first 2 shown]
.long 0x24626282
.long 0xD1000031, 0x012A6333
.long 0x24640082
.long 0xD1FE0030, 0x020A0103
.long 0xD1000030, 0x012A6133
	;; [unrolled: 1-line block ×18, first 2 shown]
.long 0xBF800001
.long 0x0A505028
	;; [unrolled: 1-line block ×18, first 2 shown]
.long 0xD0CC0030, 0x0001003E
.long 0xD1000020, 0x00C240F2
	;; [unrolled: 1-line block ×28, first 2 shown]
.long 0xBEC41E3A
.long 0x7E500304
	;; [unrolled: 1-line block ×9, first 2 shown]
.long 0xE07C1000, 0x8003280D
.long 0xE07C1010, 0x80032C0D
	;; [unrolled: 1-line block ×30, first 2 shown]
.long 0xBEC41E3A
.long 0x7E800304
	;; [unrolled: 1-line block ×9, first 2 shown]
.long 0xE07C1000, 0x80034030
.long 0xE07C1010, 0x80034430
.long 0xBF800000
.long 0x7E6602FF, 0x80000000
.long 0xD1196A01, 0x00013B01
.long 0x92469D22
.long 0xD1340002, 0x00008D02
.long 0x92469D20
.long 0xD1340003, 0x00008D03
.long 0xD0C90046, 0x00002900
	;; [unrolled: 1-line block ×3, first 2 shown]
.long 0x86CA4A46
.long 0xD1FE000D, 0x020A0102
.long 0xD100000D, 0x012A1B33
	;; [unrolled: 1-line block ×6, first 2 shown]
.long 0x241C1C82
.long 0xD100000E, 0x012A1D33
.long 0xD9FE0000, 0x1800000E
	;; [unrolled: 1-line block ×3, first 2 shown]
.long 0x241E0082
.long 0xE05C1000, 0x800F200F
.long 0xE05C1010, 0x800F240F
	;; [unrolled: 1-line block ×9, first 2 shown]
.long 0x86CA4A46
.long 0xD1FE0030, 0x020A0102
.long 0xD1000030, 0x012A6133
	;; [unrolled: 1-line block ×6, first 2 shown]
.long 0x24626282
.long 0xD1000031, 0x012A6333
.long 0x24640082
.long 0xD1FE0030, 0x020A0103
.long 0xD1000030, 0x012A6133
.long 0xD3D84028, 0x180001E0
.long 0xD3D84029, 0x180001E4
.long 0xD3D8402A, 0x180001E8
.long 0xD3D8402B, 0x180001EC
.long 0xD3D8402C, 0x180001F0
.long 0xD3D8402D, 0x180001F4
.long 0xD3D8402E, 0x180001F8
.long 0xD3D8402F, 0x180001FC
.long 0xD3D84040, 0x180001E1
.long 0xD3D84041, 0x180001E5
.long 0xD3D84042, 0x180001E9
.long 0xD3D84043, 0x180001ED
.long 0xD3D84044, 0x180001F1
.long 0xD3D84045, 0x180001F5
.long 0xD3D84046, 0x180001F9
.long 0xD3D84047, 0x180001FD
.long 0xBF800001
.long 0x0A505028
	;; [unrolled: 1-line block ×18, first 2 shown]
.long 0xD0CC0030, 0x0001003E
.long 0xD1000020, 0x00C240F2
	;; [unrolled: 1-line block ×28, first 2 shown]
.long 0xBEC41E3A
.long 0x7E500304
	;; [unrolled: 1-line block ×9, first 2 shown]
.long 0xE07C1000, 0x8003280D
.long 0xE07C1010, 0x80032C0D
	;; [unrolled: 1-line block ×30, first 2 shown]
.long 0xBEC41E3A
.long 0x7E800304
	;; [unrolled: 1-line block ×9, first 2 shown]
.long 0xE07C1000, 0x80034030
.long 0xE07C1010, 0x80034430
.long 0xBF800000
.long 0x7E6602FF, 0x80000000
.long 0xD1196A01, 0x00010301
	;; [unrolled: 1-line block ×6, first 2 shown]
.long 0x86CA4A46
.long 0xD1FE000D, 0x020A0102
.long 0xD100000D, 0x012A1B33
	;; [unrolled: 1-line block ×6, first 2 shown]
.long 0x241C1C82
.long 0xD100000E, 0x012A1D33
.long 0xD9FE0000, 0x1800000E
	;; [unrolled: 1-line block ×3, first 2 shown]
.long 0x241E0082
.long 0xE05C1000, 0x800F200F
.long 0xE05C1010, 0x800F240F
	;; [unrolled: 1-line block ×9, first 2 shown]
.long 0x86CA4A46
.long 0xD1FE0030, 0x020A0102
.long 0xD1000030, 0x012A6133
	;; [unrolled: 1-line block ×6, first 2 shown]
.long 0x24626282
.long 0xD1000031, 0x012A6333
.long 0x24640082
.long 0xD1FE0030, 0x020A0103
.long 0xD1000030, 0x012A6133
	;; [unrolled: 1-line block ×18, first 2 shown]
.long 0xBF800001
.long 0x0A505028
	;; [unrolled: 1-line block ×18, first 2 shown]
.long 0xD0CC0030, 0x0001003E
.long 0xD1000020, 0x00C240F2
	;; [unrolled: 1-line block ×28, first 2 shown]
.long 0xBEC41E3A
.long 0x7E500304
	;; [unrolled: 1-line block ×9, first 2 shown]
.long 0xE07C1000, 0x8003280D
.long 0xE07C1010, 0x80032C0D
	;; [unrolled: 1-line block ×30, first 2 shown]
.long 0xBEC41E3A
.long 0x7E800304
	;; [unrolled: 1-line block ×9, first 2 shown]
.long 0xE07C1000, 0x80034030
.long 0xE07C1010, 0x80034430
.long 0xBF800000
.long 0x7E6602FF, 0x80000000
.long 0xD1196A01, 0x00013B01
.long 0x92469D22
.long 0xD1340002, 0x00008D02
.long 0x92469D20
.long 0xD1340003, 0x00008D03
.long 0xD0C90046, 0x00002900
	;; [unrolled: 1-line block ×3, first 2 shown]
.long 0x86CA4A46
.long 0xD1FE000D, 0x020A0102
.long 0xD100000D, 0x012A1B33
	;; [unrolled: 1-line block ×6, first 2 shown]
.long 0x241C1C82
.long 0xD100000E, 0x012A1D33
.long 0xD9FE0000, 0x1800000E
	;; [unrolled: 1-line block ×3, first 2 shown]
.long 0x241E0082
.long 0xE05C1000, 0x800F200F
.long 0xE05C1010, 0x800F240F
	;; [unrolled: 1-line block ×9, first 2 shown]
.long 0x86CA4A46
.long 0xD1FE0030, 0x020A0102
.long 0xD1000030, 0x012A6133
	;; [unrolled: 1-line block ×6, first 2 shown]
.long 0x24626282
.long 0xD1000031, 0x012A6333
.long 0x24640082
.long 0xD1FE0030, 0x020A0103
.long 0xD1000030, 0x012A6133
.long 0x7E500380
.long 0x7E520384
	;; [unrolled: 1-line block ×34, first 2 shown]
.long 0xD0CC0030, 0x0001003E
.long 0xD1000020, 0x00C240F2
	;; [unrolled: 1-line block ×28, first 2 shown]
.long 0xBEC41E3A
.long 0x7E500304
.long 0x7E520305
.long 0x7E540306
.long 0x7E560307
.long 0x7E580308
.long 0x7E5A0309
.long 0x7E5C030A
.long 0x7E5E030B
.long 0xE07C1000, 0x8003280D
.long 0xE07C1010, 0x80032C0D
	;; [unrolled: 1-line block ×30, first 2 shown]
.long 0xBEC41E3A
.long 0x7E800304
	;; [unrolled: 1-line block ×9, first 2 shown]
.long 0xE07C1000, 0x80034030
.long 0xE07C1010, 0x80034430
.long 0xBF800000
.long 0x7E6602FF, 0x80000000
.long 0xD1196A01, 0x00010301
	;; [unrolled: 1-line block ×6, first 2 shown]
.long 0x86CA4A46
.long 0xD1FE000D, 0x020A0102
.long 0xD100000D, 0x012A1B33
	;; [unrolled: 1-line block ×6, first 2 shown]
.long 0x241C1C82
.long 0xD100000E, 0x012A1D33
.long 0xD9FE0000, 0x1800000E
	;; [unrolled: 1-line block ×3, first 2 shown]
.long 0x241E0082
.long 0xE05C1000, 0x800F200F
.long 0xE05C1010, 0x800F240F
	;; [unrolled: 1-line block ×9, first 2 shown]
.long 0x86CA4A46
.long 0xD1FE0030, 0x020A0102
.long 0xD1000030, 0x012A6133
	;; [unrolled: 1-line block ×6, first 2 shown]
.long 0x24626282
.long 0xD1000031, 0x012A6333
.long 0x24640082
.long 0xD1FE0030, 0x020A0103
.long 0xD1000030, 0x012A6133
.long 0x7E500382
.long 0x7E520386
	;; [unrolled: 1-line block ×34, first 2 shown]
.long 0xD0CC0030, 0x0001003E
.long 0xD1000020, 0x00C240F2
	;; [unrolled: 1-line block ×28, first 2 shown]
.long 0xBEC41E3A
.long 0x7E500304
	;; [unrolled: 1-line block ×9, first 2 shown]
.long 0xE07C1000, 0x8003280D
.long 0xE07C1010, 0x80032C0D
	;; [unrolled: 1-line block ×30, first 2 shown]
.long 0xBEC41E3A
.long 0x7E800304
	;; [unrolled: 1-line block ×9, first 2 shown]
.long 0xE07C1000, 0x80034030
.long 0xE07C1010, 0x80034430
.long 0xBF800000
.long 0x7E6602FF, 0x80000000
.long 0xD1196A01, 0x00013B01
.long 0x92469D22
.long 0xD1340002, 0x00008D02
.long 0x92469D20
.long 0xD1340003, 0x00008D03
.long 0xD0C90046, 0x00002900
	;; [unrolled: 1-line block ×3, first 2 shown]
.long 0x86CA4A46
.long 0xD1FE000D, 0x020A0102
.long 0xD100000D, 0x012A1B33
	;; [unrolled: 1-line block ×6, first 2 shown]
.long 0x241C1C82
.long 0xD100000E, 0x012A1D33
.long 0xD9FE0000, 0x1800000E
	;; [unrolled: 1-line block ×3, first 2 shown]
.long 0x241E0082
.long 0xE05C1000, 0x800F200F
.long 0xE05C1010, 0x800F240F
	;; [unrolled: 1-line block ×9, first 2 shown]
.long 0x86CA4A46
.long 0xD1FE0030, 0x020A0102
.long 0xD1000030, 0x012A6133
	;; [unrolled: 1-line block ×6, first 2 shown]
.long 0x24626282
.long 0xD1000031, 0x012A6333
.long 0x24640082
.long 0xD1FE0030, 0x020A0103
.long 0xD1000030, 0x012A6133
.long 0x7E5003A0
.long 0x7E5203A4
	;; [unrolled: 1-line block ×34, first 2 shown]
.long 0xD0CC0030, 0x0001003E
.long 0xD1000020, 0x00C240F2
	;; [unrolled: 1-line block ×28, first 2 shown]
.long 0xBEC41E3A
.long 0x7E500304
	;; [unrolled: 1-line block ×9, first 2 shown]
.long 0xE07C1000, 0x8003280D
.long 0xE07C1010, 0x80032C0D
	;; [unrolled: 1-line block ×30, first 2 shown]
.long 0xBEC41E3A
.long 0x7E800304
	;; [unrolled: 1-line block ×9, first 2 shown]
.long 0xE07C1000, 0x80034030
.long 0xE07C1010, 0x80034430
.long 0xBF800000
.long 0x7E6602FF, 0x80000000
.long 0xD1196A01, 0x00010301
	;; [unrolled: 1-line block ×6, first 2 shown]
.long 0x86CA4A46
.long 0xD1FE000D, 0x020A0102
.long 0xD100000D, 0x012A1B33
	;; [unrolled: 1-line block ×6, first 2 shown]
.long 0x241C1C82
.long 0xD100000E, 0x012A1D33
.long 0xD9FE0000, 0x1800000E
	;; [unrolled: 1-line block ×3, first 2 shown]
.long 0x241E0082
.long 0xE05C1000, 0x800F200F
.long 0xE05C1010, 0x800F240F
	;; [unrolled: 1-line block ×9, first 2 shown]
.long 0x86CA4A46
.long 0xD1FE0030, 0x020A0102
.long 0xD1000030, 0x012A6133
	;; [unrolled: 1-line block ×6, first 2 shown]
.long 0x24626282
.long 0xD1000031, 0x012A6333
.long 0x24640082
.long 0xD1FE0030, 0x020A0103
.long 0xD1000030, 0x012A6133
.long 0x7E5003A2
.long 0x7E5203A6
	;; [unrolled: 1-line block ×34, first 2 shown]
.long 0xD0CC0030, 0x0001003E
.long 0xD1000020, 0x00C240F2
.long 0xD1000021, 0x00C242F2
.long 0xD3B14028, 0x18025120
.long 0xD0CC0030, 0x0001003E
.long 0xD1000022, 0x00C244F2
.long 0xD1000023, 0x00C246F2
.long 0xD3B1402A, 0x18025522
.long 0xD0CC0030, 0x0001003E
.long 0xD1000024, 0x00C248F2
.long 0xD1000025, 0x00C24AF2
.long 0xD3B1402C, 0x18025924
.long 0xD0CC0030, 0x0001003E
.long 0xD1000026, 0x00C24CF2
.long 0xD1000027, 0x00C24EF2
.long 0xD3B1402E, 0x18025D26
.long 0xD13B0028, 0x00005310
.long 0xD13B0029, 0x00005311
.long 0xD13B002A, 0x00005312
.long 0xD13B002B, 0x00005313
.long 0xD13B002C, 0x00005314
.long 0xD13B002D, 0x00005315
.long 0xD13B002E, 0x00005316
.long 0xD13B002F, 0x00005317
.long 0xD3B24004, 0x18025118
.long 0xD3B24006, 0x1802551A
.long 0xD3B24008, 0x1802591C
.long 0xD3B2400A, 0x18025D1E
.long 0xBEC41E3A
.long 0x7E500304
	;; [unrolled: 1-line block ×9, first 2 shown]
.long 0xE07C1000, 0x8003280D
.long 0xE07C1010, 0x80032C0D
	;; [unrolled: 1-line block ×30, first 2 shown]
.long 0xBEC41E3A
.long 0x7E800304
	;; [unrolled: 1-line block ×9, first 2 shown]
.long 0xE07C1000, 0x80034030
.long 0xE07C1010, 0x80034430
.long 0xBF800000
.long 0x7E6602FF, 0x80000000
.long 0xD1196A01, 0x00013B01
.long 0x92469D22
.long 0xD1340002, 0x00008D02
.long 0x92469D20
.long 0xD1340003, 0x00008D03
.long 0xD0C90046, 0x00002900
	;; [unrolled: 1-line block ×3, first 2 shown]
.long 0x86CA4A46
.long 0xD1FE000D, 0x020A0102
.long 0xD100000D, 0x012A1B33
	;; [unrolled: 1-line block ×6, first 2 shown]
.long 0x241C1C82
.long 0xD100000E, 0x012A1D33
.long 0xD9FE0000, 0x1800000E
	;; [unrolled: 1-line block ×3, first 2 shown]
.long 0x241E0082
.long 0xE05C1000, 0x800F200F
.long 0xE05C1010, 0x800F240F
	;; [unrolled: 1-line block ×9, first 2 shown]
.long 0x86CA4A46
.long 0xD1FE0030, 0x020A0102
.long 0xD1000030, 0x012A6133
.long 0xE05C1000, 0x80043830
.long 0xE05C1010, 0x80043C30
.long 0x924602FF, 0x00000100
.long 0xD1350031, 0x00008D00
.long 0x24626282
.long 0xD1000031, 0x012A6333
.long 0x24640082
.long 0xD1FE0030, 0x020A0103
.long 0xD1000030, 0x012A6133
.long 0x7E5003C0
.long 0x7E5203C4
	;; [unrolled: 1-line block ×34, first 2 shown]
.long 0xD0CC0030, 0x0001003E
.long 0xD1000020, 0x00C240F2
	;; [unrolled: 1-line block ×28, first 2 shown]
.long 0xBEC41E3A
.long 0x7E500304
	;; [unrolled: 1-line block ×9, first 2 shown]
.long 0xE07C1000, 0x8003280D
.long 0xE07C1010, 0x80032C0D
	;; [unrolled: 1-line block ×30, first 2 shown]
.long 0xBEC41E3A
.long 0x7E800304
.long 0x7E820305
.long 0x7E840306
.long 0x7E860307
.long 0x7E880308
.long 0x7E8A0309
.long 0x7E8C030A
.long 0x7E8E030B
.long 0xE07C1000, 0x80034030
.long 0xE07C1010, 0x80034430
.long 0xBF800000
.long 0x7E6602FF, 0x80000000
.long 0xD1196A01, 0x00010301
	;; [unrolled: 1-line block ×6, first 2 shown]
.long 0x86CA4A46
.long 0xD1FE000D, 0x020A0102
.long 0xD100000D, 0x012A1B33
.long 0xE05C1000, 0x8004100D
.long 0xE05C1010, 0x8004140D
.long 0x924602FF, 0x00000100
.long 0xD135000E, 0x00008D00
.long 0x241C1C82
.long 0xD100000E, 0x012A1D33
.long 0xD9FE0000, 0x1800000E
	;; [unrolled: 1-line block ×3, first 2 shown]
.long 0x241E0082
.long 0xE05C1000, 0x800F200F
.long 0xE05C1010, 0x800F240F
	;; [unrolled: 1-line block ×9, first 2 shown]
.long 0x86CA4A46
.long 0xD1FE0030, 0x020A0102
.long 0xD1000030, 0x012A6133
	;; [unrolled: 1-line block ×6, first 2 shown]
.long 0x24626282
.long 0xD1000031, 0x012A6333
.long 0x24640082
.long 0xD1FE0030, 0x020A0103
.long 0xD1000030, 0x012A6133
.long 0x7E5003C2
.long 0x7E5203C6
.long 0x7E5403CA
.long 0x7E5603CE
.long 0x7E5803D2
.long 0x7E5A03D6
.long 0x7E5C03DA
.long 0x7E5E03DE
.long 0x7E8003C3
.long 0x7E8203C7
.long 0x7E8403CB
.long 0x7E8603CF
.long 0x7E8803D3
.long 0x7E8A03D7
.long 0x7E8C03DB
.long 0x7E8E03DF
.long 0xBF800001
.long 0x0A505028
.long 0x0A525228
.long 0x0A545428
.long 0x0A565628
.long 0x0A585828
.long 0x0A5A5A28
.long 0x0A5C5C28
.long 0x0A5E5E28
.long 0x0A808028
.long 0x0A828228
.long 0x0A848428
.long 0x0A868628
.long 0x0A888828
.long 0x0A8A8A28
.long 0x0A8C8C28
.long 0x0A8E8E28
.long 0xBF8C0000
.long 0xD0CC0030, 0x0001003E
.long 0xD1000020, 0x00C240F2
	;; [unrolled: 1-line block ×28, first 2 shown]
.long 0xBEC41E3A
.long 0x7E500304
	;; [unrolled: 1-line block ×9, first 2 shown]
.long 0xE07C1000, 0x8003280D
.long 0xE07C1010, 0x80032C0D
	;; [unrolled: 1-line block ×30, first 2 shown]
.long 0xBEC41E3A
.long 0x7E800304
	;; [unrolled: 1-line block ×9, first 2 shown]
.long 0xE07C1000, 0x80034030
.long 0xE07C1010, 0x80034430
.long 0xBF800000
.long 0x7E6602FF, 0x80000000
.long 0xD1196A01, 0x00013B01
.long 0x92469D22
.long 0xD1340002, 0x00008D02
.long 0x92469D20
.long 0xD1340003, 0x00008D03
.long 0xD0C90046, 0x00002900
	;; [unrolled: 1-line block ×3, first 2 shown]
.long 0x86CA4A46
.long 0xD1FE000D, 0x020A0102
.long 0xD100000D, 0x012A1B33
	;; [unrolled: 1-line block ×6, first 2 shown]
.long 0x241C1C82
.long 0xD100000E, 0x012A1D33
.long 0xD9FE0000, 0x1800000E
.long 0xD9FE0010, 0x1C00000E
.long 0x241E0082
.long 0xE05C1000, 0x800F200F
.long 0xE05C1010, 0x800F240F
.long 0xD1FE000D, 0x020A0103
.long 0xD100000D, 0x012A1B33
.long 0xD1196A01, 0x00010301
.long 0xD1340002, 0x00004502
.long 0xD1340003, 0x00004103
.long 0xD0C90046, 0x00002900
.long 0xD0C9004A, 0x00002B01
.long 0x86CA4A46
.long 0xD1FE0030, 0x020A0102
.long 0xD1000030, 0x012A6133
	;; [unrolled: 1-line block ×6, first 2 shown]
.long 0x24626282
.long 0xD1000031, 0x012A6333
.long 0x24640082
.long 0xD1FE0030, 0x020A0103
.long 0xD1000030, 0x012A6133
.long 0x7E5003E0
.long 0x7E5203E4
	;; [unrolled: 1-line block ×34, first 2 shown]
.long 0xD0CC0030, 0x0001003E
.long 0xD1000020, 0x00C240F2
	;; [unrolled: 1-line block ×28, first 2 shown]
.long 0xBEC41E3A
.long 0x7E500304
	;; [unrolled: 1-line block ×9, first 2 shown]
.long 0xE07C1000, 0x8003280D
.long 0xE07C1010, 0x80032C0D
	;; [unrolled: 1-line block ×30, first 2 shown]
.long 0xBEC41E3A
.long 0x7E800304
	;; [unrolled: 1-line block ×9, first 2 shown]
.long 0xE07C1000, 0x80034030
.long 0xE07C1010, 0x80034430
.long 0xBF800000
.long 0x7E6602FF, 0x80000000
.long 0xD1196A01, 0x00010301
	;; [unrolled: 1-line block ×6, first 2 shown]
.long 0x86CA4A46
.long 0xD1FE000D, 0x020A0102
.long 0xD100000D, 0x012A1B33
	;; [unrolled: 1-line block ×6, first 2 shown]
.long 0x241C1C82
.long 0xD100000E, 0x012A1D33
.long 0xD9FE0000, 0x1800000E
.long 0xD9FE0010, 0x1C00000E
.long 0x241E0082
.long 0xE05C1000, 0x800F200F
.long 0xE05C1010, 0x800F240F
	;; [unrolled: 1-line block ×9, first 2 shown]
.long 0x86CA4A46
.long 0xD1FE0030, 0x020A0102
.long 0xD1000030, 0x012A6133
	;; [unrolled: 1-line block ×6, first 2 shown]
.long 0x24626282
.long 0xD1000031, 0x012A6333
.long 0x24640082
.long 0xD1FE0030, 0x020A0103
.long 0xD1000030, 0x012A6133
.long 0x7E5003E2
.long 0x7E5203E6
	;; [unrolled: 1-line block ×34, first 2 shown]
.long 0xD0CC0030, 0x0001003E
.long 0xD1000020, 0x00C240F2
	;; [unrolled: 1-line block ×28, first 2 shown]
.long 0xBEC41E3A
.long 0x7E500304
	;; [unrolled: 1-line block ×9, first 2 shown]
.long 0xE07C1000, 0x8003280D
.long 0xE07C1010, 0x80032C0D
	;; [unrolled: 1-line block ×30, first 2 shown]
.long 0xBEC41E3A
.long 0x7E800304
	;; [unrolled: 1-line block ×9, first 2 shown]
.long 0xE07C1000, 0x80034030
.long 0xE07C1010, 0x80034430
.long 0xBF800000
.long 0xBF820201
	;; [unrolled: 1-line block ×3, first 2 shown]
.long 0x260808FF, 0x7FFFFFFF
.long 0x260A0AFF, 0x7FFFFFFF
	;; [unrolled: 1-line block ×8, first 2 shown]
.long 0xBE801D44
.long 0xD044006A, 0x00006D04
.long 0x14080837
.long 0x00080880
.long 0xD044006A, 0x00006D05
.long 0x140A0A37
	;; [unrolled: 3-line block ×8, first 2 shown]
.long 0x00161680
.long 0xBE801D44
.long 0x0A1808FF, 0x3D372713
.long 0xD1CB000C, 0x03CA1904
.long 0x0A181904
.long 0x0A1818FF, 0x40135761
.long 0x7E18410C
.long 0xBF800000
.long 0x021818F2
.long 0x7E18450C
.long 0xBF800000
.long 0xD1CB000C, 0x03D218F5
.long 0x0A181904
.long 0x0A0818F0
.long 0x0A180AFF, 0x3D372713
.long 0xD1CB000C, 0x03CA1905
.long 0x0A181905
.long 0x0A1818FF, 0x40135761
.long 0x7E18410C
.long 0xBF800000
.long 0x021818F2
.long 0x7E18450C
.long 0xBF800000
.long 0xD1CB000C, 0x03D218F5
	;; [unrolled: 12-line block ×8, first 2 shown]
.long 0x0A18190B
.long 0x0A1618F0
	;; [unrolled: 1-line block ×4, first 2 shown]
.long 0xD046006A, 0x00010104
.long 0x0008090C
.long 0x0A180A36
.long 0xD046006A, 0x00010105
.long 0x000A0B0C
.long 0x0A180C36
	;; [unrolled: 3-line block ×8, first 2 shown]
.long 0xD10B0004, 0x00010104
.long 0xD10B0005, 0x00010105
	;; [unrolled: 1-line block ×8, first 2 shown]
.long 0xBE801D44
.long 0x0A0808FF, 0xBFB8AA3B
.long 0x7E084104
.long 0xBF800000
.long 0x020808F2
.long 0x7E084504
.long 0xBF800000
.long 0x0A0A0AFF, 0xBFB8AA3B
.long 0x7E0A4105
.long 0xBF800000
.long 0x020A0AF2
.long 0x7E0A4505
	;; [unrolled: 6-line block ×8, first 2 shown]
.long 0xBF800000
.long 0xBE801D44
	;; [unrolled: 1-line block ×3, first 2 shown]
.long 0x0A0808FF, 0x4038AA3B
.long 0x7E084104
.long 0xBF800000
.long 0x020808F2
.long 0x7E084504
.long 0xBF800000
.long 0xD1CB0004, 0x03CA08F5
.long 0x0A080837
.long 0x0A0A0A36
.long 0x0A0A0AFF, 0x4038AA3B
.long 0x7E0A4105
.long 0xBF800000
.long 0x020A0AF2
.long 0x7E0A4505
.long 0xBF800000
.long 0xD1CB0005, 0x03CA0AF5
.long 0x0A0A0A37
.long 0x0A0C0C36
	;; [unrolled: 9-line block ×8, first 2 shown]
.long 0x0A1808FF, 0x3D372713
.long 0xD1CB000C, 0x03CA1904
.long 0x0A181904
.long 0x0A1818FF, 0x40135761
.long 0x7E18410C
.long 0xBF800000
.long 0x021818F2
.long 0x7E18450C
.long 0xBF800000
.long 0xD1CB000C, 0x03D218F5
.long 0x0A181904
.long 0x0A1818F0
.long 0x0A081836
.long 0x0A180AFF, 0x3D372713
.long 0xD1CB000C, 0x03CA1905
.long 0x0A181905
.long 0x0A1818FF, 0x40135761
.long 0x7E18410C
.long 0xBF800000
.long 0x021818F2
.long 0x7E18450C
.long 0xBF800000
.long 0xD1CB000C, 0x03D218F5
.long 0x0A181905
.long 0x0A1818F0
.long 0x0A0A1836
	;; [unrolled: 13-line block ×8, first 2 shown]
.long 0xBE801D44
.long 0xBF810000
